;; amdgpu-corpus repo=ROCm/rocm-libraries kind=compiled arch=gfx1250 opt=O3
	.amdgcn_target "amdgcn-amd-amdhsa--gfx1250"
	.amdhsa_code_object_version 6
	.text
	.protected	batched_transpose_16x16_dword ; -- Begin function batched_transpose_16x16_dword
	.globl	batched_transpose_16x16_dword
	.p2align	8
	.type	batched_transpose_16x16_dword,@function
batched_transpose_16x16_dword:          ; @batched_transpose_16x16_dword
; %bb.0:
	s_load_b256 s[4:11], s[0:1], 0x10
	s_bfe_u32 s2, ttmp6, 0x4000c
	s_and_b32 s3, ttmp6, 15
	s_add_co_i32 s2, s2, 1
	s_getreg_b32 s12, hwreg(HW_REG_IB_STS2, 6, 4)
	s_mul_i32 s2, ttmp9, s2
	s_delay_alu instid0(SALU_CYCLE_1)
	s_add_co_i32 s3, s3, s2
	s_cmp_eq_u32 s12, 0
	s_cselect_b32 s2, ttmp9, s3
	s_mov_b32 s3, 0
	s_wait_kmcnt 0x0
	s_cmp_ge_u32 s2, s7
	s_cbranch_scc1 .LBB0_7
; %bb.1:
	s_load_b128 s[12:15], s[0:1], 0x0
	v_dual_lshrrev_b32 v5, 4, v0 :: v_dual_bitop2_b32 v4, 15, v0 bitop3:0x40
	s_wait_xcnt 0x0
	s_add_co_i32 s0, s5, 15
	s_add_co_i32 s16, s4, 15
	s_and_b32 s0, s0, -16
	v_dual_lshlrev_b32 v0, 2, v4 :: v_dual_lshlrev_b32 v1, 2, v5
	s_lshr_b32 s1, s16, 4
	s_mov_b32 s16, s10
	s_mov_b32 s17, s3
	s_delay_alu instid0(VALU_DEP_1)
	v_mad_u32_u24 v6, 0x44, v5, v0
	v_mad_u32_u24 v7, 0x44, v4, v1
	v_mov_b32_e32 v1, 0
	s_mov_b32 s18, s8
	s_mov_b32 s19, s3
	;; [unrolled: 1-line block ×6, first 2 shown]
	s_sub_co_i32 s8, 0, s0
	s_lshl_b32 s10, s2, 4
	s_lshl_b32 s24, s6, 4
	s_branch .LBB0_3
.LBB0_2:                                ;   in Loop: Header=BB0_3 Depth=1
	s_wait_xcnt 0x0
	s_or_b32 exec_lo, exec_lo, s0
	s_add_co_i32 s2, s2, s6
	s_add_co_i32 s10, s10, s24
	s_cmp_lt_u32 s2, s7
	s_cbranch_scc0 .LBB0_7
.LBB0_3:                                ; =>This Inner Loop Header: Depth=1
	s_mul_u64 s[26:27], s[16:17], s[2:3]
	s_delay_alu instid0(SALU_CYCLE_1)
	s_add_co_i32 s0, s2, s27
	s_mov_b32 s27, s3
	s_lshr_b32 s26, s0, s11
	s_barrier_signal -1
	s_mul_u64 s[28:29], s[26:27], s[18:19]
	s_barrier_wait -1
	s_add_co_i32 s0, s26, s29
	s_delay_alu instid0(SALU_CYCLE_1) | instskip(NEXT) | instid1(SALU_CYCLE_1)
	s_lshr_b32 s25, s0, s9
	s_mul_i32 s0, s25, s1
	s_delay_alu instid0(SALU_CYCLE_1) | instskip(SKIP_4) | instid1(VALU_DEP_2)
	s_sub_co_i32 s0, s26, s0
	s_mul_i32 s26, s8, s26
	s_lshl_b32 s27, s0, 4
	v_add3_u32 v2, s26, s10, v4
	v_or_b32_e32 v0, s27, v5
	v_cmp_gt_u32_e64 s0, s5, v2
	s_delay_alu instid0(VALU_DEP_2) | instskip(SKIP_1) | instid1(SALU_CYCLE_1)
	v_cmp_gt_u32_e32 vcc_lo, s4, v0
	s_and_b32 s28, vcc_lo, s0
	s_and_saveexec_b32 s0, s28
	s_cbranch_execz .LBB0_5
; %bb.4:                                ;   in Loop: Header=BB0_3 Depth=1
	v_mad_nc_u64_u32 v[8:9], s25, s20, v[0:1]
	v_mov_b32_e32 v3, v1
	s_delay_alu instid0(VALU_DEP_2) | instskip(SKIP_1) | instid1(VALU_DEP_1)
	v_mul_u64_e32 v[8:9], s[22:23], v[8:9]
	s_wait_kmcnt 0x0
	v_lshl_add_u64 v[8:9], v[8:9], 2, s[14:15]
	s_delay_alu instid0(VALU_DEP_1)
	v_lshl_add_u64 v[2:3], v[2:3], 2, v[8:9]
	global_load_b32 v0, v[2:3], off
	s_wait_loadcnt 0x0
	ds_store_b32 v6, v0
.LBB0_5:                                ;   in Loop: Header=BB0_3 Depth=1
	s_wait_xcnt 0x0
	s_or_b32 exec_lo, exec_lo, s0
	v_or_b32_e32 v2, s27, v4
	v_add3_u32 v0, s26, s10, v5
	s_wait_dscnt 0x0
	s_barrier_signal -1
	s_barrier_wait -1
	v_cmp_gt_u32_e32 vcc_lo, s4, v2
	v_cmp_gt_u32_e64 s0, s5, v0
	s_and_b32 s26, s0, vcc_lo
	s_delay_alu instid0(SALU_CYCLE_1)
	s_and_saveexec_b32 s0, s26
	s_cbranch_execz .LBB0_2
; %bb.6:                                ;   in Loop: Header=BB0_3 Depth=1
	v_mad_nc_u64_u32 v[8:9], s25, s22, v[0:1]
	ds_load_b32 v0, v7
	v_mov_b32_e32 v3, v1
	v_mul_u64_e32 v[8:9], s[20:21], v[8:9]
	s_wait_kmcnt 0x0
	s_delay_alu instid0(VALU_DEP_1) | instskip(NEXT) | instid1(VALU_DEP_1)
	v_lshl_add_u64 v[8:9], v[8:9], 2, s[12:13]
	v_lshl_add_u64 v[2:3], v[2:3], 2, v[8:9]
	s_wait_dscnt 0x0
	global_store_b32 v[2:3], v0, off
	s_branch .LBB0_2
.LBB0_7:
	s_endpgm
	.section	.rodata,"a",@progbits
	.p2align	6, 0x0
	.amdhsa_kernel batched_transpose_16x16_dword
		.amdhsa_group_segment_fixed_size 1088
		.amdhsa_private_segment_fixed_size 0
		.amdhsa_kernarg_size 48
		.amdhsa_user_sgpr_count 2
		.amdhsa_user_sgpr_dispatch_ptr 0
		.amdhsa_user_sgpr_queue_ptr 0
		.amdhsa_user_sgpr_kernarg_segment_ptr 1
		.amdhsa_user_sgpr_dispatch_id 0
		.amdhsa_user_sgpr_kernarg_preload_length 0
		.amdhsa_user_sgpr_kernarg_preload_offset 0
		.amdhsa_user_sgpr_private_segment_size 0
		.amdhsa_wavefront_size32 1
		.amdhsa_uses_dynamic_stack 0
		.amdhsa_enable_private_segment 0
		.amdhsa_system_sgpr_workgroup_id_x 1
		.amdhsa_system_sgpr_workgroup_id_y 0
		.amdhsa_system_sgpr_workgroup_id_z 0
		.amdhsa_system_sgpr_workgroup_info 0
		.amdhsa_system_vgpr_workitem_id 0
		.amdhsa_next_free_vgpr 10
		.amdhsa_next_free_sgpr 30
		.amdhsa_named_barrier_count 0
		.amdhsa_reserve_vcc 1
		.amdhsa_float_round_mode_32 0
		.amdhsa_float_round_mode_16_64 0
		.amdhsa_float_denorm_mode_32 3
		.amdhsa_float_denorm_mode_16_64 3
		.amdhsa_fp16_overflow 0
		.amdhsa_memory_ordered 1
		.amdhsa_forward_progress 1
		.amdhsa_inst_pref_size 5
		.amdhsa_round_robin_scheduling 0
		.amdhsa_exception_fp_ieee_invalid_op 0
		.amdhsa_exception_fp_denorm_src 0
		.amdhsa_exception_fp_ieee_div_zero 0
		.amdhsa_exception_fp_ieee_overflow 0
		.amdhsa_exception_fp_ieee_underflow 0
		.amdhsa_exception_fp_ieee_inexact 0
		.amdhsa_exception_int_div_zero 0
	.end_amdhsa_kernel
	.text
.Lfunc_end0:
	.size	batched_transpose_16x16_dword, .Lfunc_end0-batched_transpose_16x16_dword
                                        ; -- End function
	.set batched_transpose_16x16_dword.num_vgpr, 10
	.set batched_transpose_16x16_dword.num_agpr, 0
	.set batched_transpose_16x16_dword.numbered_sgpr, 30
	.set batched_transpose_16x16_dword.num_named_barrier, 0
	.set batched_transpose_16x16_dword.private_seg_size, 0
	.set batched_transpose_16x16_dword.uses_vcc, 1
	.set batched_transpose_16x16_dword.uses_flat_scratch, 0
	.set batched_transpose_16x16_dword.has_dyn_sized_stack, 0
	.set batched_transpose_16x16_dword.has_recursion, 0
	.set batched_transpose_16x16_dword.has_indirect_call, 0
	.section	.AMDGPU.csdata,"",@progbits
; Kernel info:
; codeLenInByte = 524
; TotalNumSgprs: 32
; NumVgprs: 10
; ScratchSize: 0
; MemoryBound: 0
; FloatMode: 240
; IeeeMode: 1
; LDSByteSize: 1088 bytes/workgroup (compile time only)
; SGPRBlocks: 0
; VGPRBlocks: 0
; NumSGPRsForWavesPerEU: 32
; NumVGPRsForWavesPerEU: 10
; NamedBarCnt: 0
; Occupancy: 16
; WaveLimiterHint : 0
; COMPUTE_PGM_RSRC2:SCRATCH_EN: 0
; COMPUTE_PGM_RSRC2:USER_SGPR: 2
; COMPUTE_PGM_RSRC2:TRAP_HANDLER: 0
; COMPUTE_PGM_RSRC2:TGID_X_EN: 1
; COMPUTE_PGM_RSRC2:TGID_Y_EN: 0
; COMPUTE_PGM_RSRC2:TGID_Z_EN: 0
; COMPUTE_PGM_RSRC2:TIDIG_COMP_CNT: 0
	.text
	.protected	batched_transpose_16x16_half ; -- Begin function batched_transpose_16x16_half
	.globl	batched_transpose_16x16_half
	.p2align	8
	.type	batched_transpose_16x16_half,@function
batched_transpose_16x16_half:           ; @batched_transpose_16x16_half
; %bb.0:
	s_load_b256 s[4:11], s[0:1], 0x10
	s_bfe_u32 s2, ttmp6, 0x4000c
	s_and_b32 s3, ttmp6, 15
	s_add_co_i32 s2, s2, 1
	s_getreg_b32 s12, hwreg(HW_REG_IB_STS2, 6, 4)
	s_mul_i32 s2, ttmp9, s2
	s_delay_alu instid0(SALU_CYCLE_1)
	s_add_co_i32 s3, s3, s2
	s_cmp_eq_u32 s12, 0
	s_cselect_b32 s2, ttmp9, s3
	s_mov_b32 s3, 0
	s_wait_kmcnt 0x0
	s_cmp_ge_u32 s2, s7
	s_cbranch_scc1 .LBB1_7
; %bb.1:
	s_load_b128 s[12:15], s[0:1], 0x0
	v_dual_lshrrev_b32 v5, 4, v0 :: v_dual_bitop2_b32 v4, 15, v0 bitop3:0x40
	s_wait_xcnt 0x0
	s_add_co_i32 s0, s5, 15
	s_add_co_i32 s16, s4, 15
	s_and_b32 s0, s0, -16
	v_dual_lshlrev_b32 v0, 1, v4 :: v_dual_lshlrev_b32 v1, 1, v5
	s_lshr_b32 s1, s16, 4
	s_mov_b32 s16, s10
	s_mov_b32 s17, s3
	s_delay_alu instid0(VALU_DEP_1)
	v_mad_u32_u24 v6, v5, 36, v0
	v_mad_u32_u24 v7, v4, 36, v1
	v_mov_b32_e32 v1, 0
	s_mov_b32 s18, s8
	s_mov_b32 s19, s3
	;; [unrolled: 1-line block ×6, first 2 shown]
	s_sub_co_i32 s8, 0, s0
	s_lshl_b32 s10, s2, 4
	s_lshl_b32 s24, s6, 4
	s_branch .LBB1_3
.LBB1_2:                                ;   in Loop: Header=BB1_3 Depth=1
	s_wait_xcnt 0x0
	s_or_b32 exec_lo, exec_lo, s0
	s_add_co_i32 s2, s2, s6
	s_add_co_i32 s10, s10, s24
	s_cmp_lt_u32 s2, s7
	s_cbranch_scc0 .LBB1_7
.LBB1_3:                                ; =>This Inner Loop Header: Depth=1
	s_mul_u64 s[26:27], s[16:17], s[2:3]
	s_delay_alu instid0(SALU_CYCLE_1)
	s_add_co_i32 s0, s2, s27
	s_mov_b32 s27, s3
	s_lshr_b32 s26, s0, s11
	s_barrier_signal -1
	s_mul_u64 s[28:29], s[26:27], s[18:19]
	s_barrier_wait -1
	s_add_co_i32 s0, s26, s29
	s_delay_alu instid0(SALU_CYCLE_1) | instskip(NEXT) | instid1(SALU_CYCLE_1)
	s_lshr_b32 s25, s0, s9
	s_mul_i32 s0, s25, s1
	s_delay_alu instid0(SALU_CYCLE_1) | instskip(SKIP_4) | instid1(VALU_DEP_2)
	s_sub_co_i32 s0, s26, s0
	s_mul_i32 s26, s8, s26
	s_lshl_b32 s27, s0, 4
	v_add3_u32 v2, s26, s10, v4
	v_or_b32_e32 v0, s27, v5
	v_cmp_gt_u32_e64 s0, s5, v2
	s_delay_alu instid0(VALU_DEP_2) | instskip(SKIP_1) | instid1(SALU_CYCLE_1)
	v_cmp_gt_u32_e32 vcc_lo, s4, v0
	s_and_b32 s28, vcc_lo, s0
	s_and_saveexec_b32 s0, s28
	s_cbranch_execz .LBB1_5
; %bb.4:                                ;   in Loop: Header=BB1_3 Depth=1
	v_mad_nc_u64_u32 v[8:9], s25, s20, v[0:1]
	v_mov_b32_e32 v3, v1
	s_delay_alu instid0(VALU_DEP_2) | instskip(SKIP_1) | instid1(VALU_DEP_1)
	v_mul_u64_e32 v[8:9], s[22:23], v[8:9]
	s_wait_kmcnt 0x0
	v_lshl_add_u64 v[8:9], v[8:9], 1, s[14:15]
	s_delay_alu instid0(VALU_DEP_1)
	v_lshl_add_u64 v[2:3], v[2:3], 1, v[8:9]
	global_load_u16 v0, v[2:3], off
	s_wait_loadcnt 0x0
	ds_store_b16 v6, v0
.LBB1_5:                                ;   in Loop: Header=BB1_3 Depth=1
	s_wait_xcnt 0x0
	s_or_b32 exec_lo, exec_lo, s0
	v_or_b32_e32 v2, s27, v4
	v_add3_u32 v0, s26, s10, v5
	s_wait_dscnt 0x0
	s_barrier_signal -1
	s_barrier_wait -1
	v_cmp_gt_u32_e32 vcc_lo, s4, v2
	v_cmp_gt_u32_e64 s0, s5, v0
	s_and_b32 s26, s0, vcc_lo
	s_delay_alu instid0(SALU_CYCLE_1)
	s_and_saveexec_b32 s0, s26
	s_cbranch_execz .LBB1_2
; %bb.6:                                ;   in Loop: Header=BB1_3 Depth=1
	v_mad_nc_u64_u32 v[8:9], s25, s22, v[0:1]
	ds_load_u16 v0, v7
	v_mov_b32_e32 v3, v1
	v_mul_u64_e32 v[8:9], s[20:21], v[8:9]
	s_wait_kmcnt 0x0
	s_delay_alu instid0(VALU_DEP_1) | instskip(NEXT) | instid1(VALU_DEP_1)
	v_lshl_add_u64 v[8:9], v[8:9], 1, s[12:13]
	v_lshl_add_u64 v[2:3], v[2:3], 1, v[8:9]
	s_wait_dscnt 0x0
	global_store_b16 v[2:3], v0, off
	s_branch .LBB1_2
.LBB1_7:
	s_endpgm
	.section	.rodata,"a",@progbits
	.p2align	6, 0x0
	.amdhsa_kernel batched_transpose_16x16_half
		.amdhsa_group_segment_fixed_size 576
		.amdhsa_private_segment_fixed_size 0
		.amdhsa_kernarg_size 48
		.amdhsa_user_sgpr_count 2
		.amdhsa_user_sgpr_dispatch_ptr 0
		.amdhsa_user_sgpr_queue_ptr 0
		.amdhsa_user_sgpr_kernarg_segment_ptr 1
		.amdhsa_user_sgpr_dispatch_id 0
		.amdhsa_user_sgpr_kernarg_preload_length 0
		.amdhsa_user_sgpr_kernarg_preload_offset 0
		.amdhsa_user_sgpr_private_segment_size 0
		.amdhsa_wavefront_size32 1
		.amdhsa_uses_dynamic_stack 0
		.amdhsa_enable_private_segment 0
		.amdhsa_system_sgpr_workgroup_id_x 1
		.amdhsa_system_sgpr_workgroup_id_y 0
		.amdhsa_system_sgpr_workgroup_id_z 0
		.amdhsa_system_sgpr_workgroup_info 0
		.amdhsa_system_vgpr_workitem_id 0
		.amdhsa_next_free_vgpr 10
		.amdhsa_next_free_sgpr 30
		.amdhsa_named_barrier_count 0
		.amdhsa_reserve_vcc 1
		.amdhsa_float_round_mode_32 0
		.amdhsa_float_round_mode_16_64 0
		.amdhsa_float_denorm_mode_32 3
		.amdhsa_float_denorm_mode_16_64 3
		.amdhsa_fp16_overflow 0
		.amdhsa_memory_ordered 1
		.amdhsa_forward_progress 1
		.amdhsa_inst_pref_size 5
		.amdhsa_round_robin_scheduling 0
		.amdhsa_exception_fp_ieee_invalid_op 0
		.amdhsa_exception_fp_denorm_src 0
		.amdhsa_exception_fp_ieee_div_zero 0
		.amdhsa_exception_fp_ieee_overflow 0
		.amdhsa_exception_fp_ieee_underflow 0
		.amdhsa_exception_fp_ieee_inexact 0
		.amdhsa_exception_int_div_zero 0
	.end_amdhsa_kernel
	.text
.Lfunc_end1:
	.size	batched_transpose_16x16_half, .Lfunc_end1-batched_transpose_16x16_half
                                        ; -- End function
	.set batched_transpose_16x16_half.num_vgpr, 10
	.set batched_transpose_16x16_half.num_agpr, 0
	.set batched_transpose_16x16_half.numbered_sgpr, 30
	.set batched_transpose_16x16_half.num_named_barrier, 0
	.set batched_transpose_16x16_half.private_seg_size, 0
	.set batched_transpose_16x16_half.uses_vcc, 1
	.set batched_transpose_16x16_half.uses_flat_scratch, 0
	.set batched_transpose_16x16_half.has_dyn_sized_stack, 0
	.set batched_transpose_16x16_half.has_recursion, 0
	.set batched_transpose_16x16_half.has_indirect_call, 0
	.section	.AMDGPU.csdata,"",@progbits
; Kernel info:
; codeLenInByte = 516
; TotalNumSgprs: 32
; NumVgprs: 10
; ScratchSize: 0
; MemoryBound: 0
; FloatMode: 240
; IeeeMode: 1
; LDSByteSize: 576 bytes/workgroup (compile time only)
; SGPRBlocks: 0
; VGPRBlocks: 0
; NumSGPRsForWavesPerEU: 32
; NumVGPRsForWavesPerEU: 10
; NamedBarCnt: 0
; Occupancy: 16
; WaveLimiterHint : 0
; COMPUTE_PGM_RSRC2:SCRATCH_EN: 0
; COMPUTE_PGM_RSRC2:USER_SGPR: 2
; COMPUTE_PGM_RSRC2:TRAP_HANDLER: 0
; COMPUTE_PGM_RSRC2:TGID_X_EN: 1
; COMPUTE_PGM_RSRC2:TGID_Y_EN: 0
; COMPUTE_PGM_RSRC2:TGID_Z_EN: 0
; COMPUTE_PGM_RSRC2:TIDIG_COMP_CNT: 0
	.text
	.protected	batched_transpose_16x16_byte ; -- Begin function batched_transpose_16x16_byte
	.globl	batched_transpose_16x16_byte
	.p2align	8
	.type	batched_transpose_16x16_byte,@function
batched_transpose_16x16_byte:           ; @batched_transpose_16x16_byte
; %bb.0:
	s_load_b256 s[4:11], s[0:1], 0x10
	s_bfe_u32 s2, ttmp6, 0x4000c
	s_and_b32 s3, ttmp6, 15
	s_add_co_i32 s2, s2, 1
	s_getreg_b32 s12, hwreg(HW_REG_IB_STS2, 6, 4)
	s_mul_i32 s2, ttmp9, s2
	s_delay_alu instid0(SALU_CYCLE_1)
	s_add_co_i32 s3, s3, s2
	s_cmp_eq_u32 s12, 0
	s_cselect_b32 s2, ttmp9, s3
	s_mov_b32 s3, 0
	s_wait_kmcnt 0x0
	s_cmp_ge_u32 s2, s7
	s_cbranch_scc1 .LBB2_7
; %bb.1:
	s_load_b128 s[12:15], s[0:1], 0x0
	v_dual_lshrrev_b32 v4, 4, v0 :: v_dual_bitop2_b32 v5, 15, v0 bitop3:0x40
	s_wait_xcnt 0x0
	s_add_co_i32 s0, s5, 15
	s_add_co_i32 s16, s4, 15
	s_and_b32 s0, s0, -16
	v_mul_u32_u24_e32 v0, 20, v4
	v_mul_u32_u24_e32 v2, 20, v5
	v_mov_b32_e32 v1, 0
	s_lshr_b32 s1, s16, 4
	s_mov_b32 s16, s10
	s_delay_alu instid0(VALU_DEP_2)
	v_dual_add_nc_u32 v6, v0, v5 :: v_dual_add_nc_u32 v7, v2, v4
	s_mov_b32 s17, s3
	s_mov_b32 s18, s8
	;; [unrolled: 1-line block ×4, first 2 shown]
	s_sub_co_i32 s10, 0, s0
	s_lshl_b32 s20, s2, 4
	s_lshl_b32 s21, s6, 4
	s_branch .LBB2_3
.LBB2_2:                                ;   in Loop: Header=BB2_3 Depth=1
	s_wait_xcnt 0x0
	s_or_b32 exec_lo, exec_lo, s0
	s_add_co_i32 s2, s2, s6
	s_add_co_i32 s20, s20, s21
	s_cmp_lt_u32 s2, s7
	s_cbranch_scc0 .LBB2_7
.LBB2_3:                                ; =>This Inner Loop Header: Depth=1
	s_mul_u64 s[22:23], s[16:17], s[2:3]
	s_mov_b32 s27, s3
	s_add_co_i32 s0, s2, s23
	s_delay_alu instid0(SALU_CYCLE_1)
	s_lshr_b32 s26, s0, s11
	s_barrier_signal -1
	s_mul_u64 s[22:23], s[26:27], s[18:19]
	s_barrier_wait -1
	s_add_co_i32 s0, s26, s23
	s_mul_i32 s23, s10, s26
	s_lshr_b32 s22, s0, s9
	v_add3_u32 v2, s23, s20, v5
	s_mul_i32 s0, s22, s1
	s_delay_alu instid0(SALU_CYCLE_1) | instskip(NEXT) | instid1(SALU_CYCLE_1)
	s_sub_co_i32 s0, s26, s0
	s_lshl_b32 s24, s0, 4
	s_delay_alu instid0(VALU_DEP_1) | instskip(SKIP_1) | instid1(VALU_DEP_1)
	v_cmp_gt_u32_e64 s0, s5, v2
	v_or_b32_e32 v0, s24, v4
	v_cmp_gt_u32_e32 vcc_lo, s4, v0
	s_and_b32 s25, vcc_lo, s0
	s_delay_alu instid0(SALU_CYCLE_1)
	s_and_saveexec_b32 s0, s25
	s_cbranch_execz .LBB2_5
; %bb.4:                                ;   in Loop: Header=BB2_3 Depth=1
	v_mad_nc_u64_u32 v[8:9], s22, s4, v[0:1]
	v_mov_b32_e32 v3, v1
	s_wait_kmcnt 0x0
	s_delay_alu instid0(VALU_DEP_2) | instskip(NEXT) | instid1(VALU_DEP_1)
	v_mad_nc_u64_u32 v[10:11], v8, s8, s[14:15]
	v_mad_u32 v11, v9, s8, v11
	s_delay_alu instid0(VALU_DEP_1)
	v_add_nc_u64_e32 v[2:3], v[10:11], v[2:3]
	global_load_u8 v0, v[2:3], off
	s_wait_loadcnt 0x0
	ds_store_b8 v6, v0
.LBB2_5:                                ;   in Loop: Header=BB2_3 Depth=1
	s_wait_xcnt 0x0
	s_or_b32 exec_lo, exec_lo, s0
	v_or_b32_e32 v2, s24, v5
	v_add3_u32 v0, s23, s20, v4
	s_wait_dscnt 0x0
	s_barrier_signal -1
	s_barrier_wait -1
	v_cmp_gt_u32_e32 vcc_lo, s4, v2
	v_cmp_gt_u32_e64 s0, s5, v0
	s_and_b32 s23, s0, vcc_lo
	s_delay_alu instid0(SALU_CYCLE_1)
	s_and_saveexec_b32 s0, s23
	s_cbranch_execz .LBB2_2
; %bb.6:                                ;   in Loop: Header=BB2_3 Depth=1
	v_mad_nc_u64_u32 v[8:9], s22, s8, v[0:1]
	ds_load_u8 v0, v7
	v_mov_b32_e32 v3, v1
	s_wait_kmcnt 0x0
	v_mad_nc_u64_u32 v[10:11], v8, s4, s[12:13]
	s_delay_alu instid0(VALU_DEP_1) | instskip(NEXT) | instid1(VALU_DEP_1)
	v_mad_u32 v11, v9, s4, v11
	v_add_nc_u64_e32 v[2:3], v[10:11], v[2:3]
	s_wait_dscnt 0x0
	global_store_b8 v[2:3], v0, off
	s_branch .LBB2_2
.LBB2_7:
	s_endpgm
	.section	.rodata,"a",@progbits
	.p2align	6, 0x0
	.amdhsa_kernel batched_transpose_16x16_byte
		.amdhsa_group_segment_fixed_size 320
		.amdhsa_private_segment_fixed_size 0
		.amdhsa_kernarg_size 48
		.amdhsa_user_sgpr_count 2
		.amdhsa_user_sgpr_dispatch_ptr 0
		.amdhsa_user_sgpr_queue_ptr 0
		.amdhsa_user_sgpr_kernarg_segment_ptr 1
		.amdhsa_user_sgpr_dispatch_id 0
		.amdhsa_user_sgpr_kernarg_preload_length 0
		.amdhsa_user_sgpr_kernarg_preload_offset 0
		.amdhsa_user_sgpr_private_segment_size 0
		.amdhsa_wavefront_size32 1
		.amdhsa_uses_dynamic_stack 0
		.amdhsa_enable_private_segment 0
		.amdhsa_system_sgpr_workgroup_id_x 1
		.amdhsa_system_sgpr_workgroup_id_y 0
		.amdhsa_system_sgpr_workgroup_id_z 0
		.amdhsa_system_sgpr_workgroup_info 0
		.amdhsa_system_vgpr_workitem_id 0
		.amdhsa_next_free_vgpr 12
		.amdhsa_next_free_sgpr 28
		.amdhsa_named_barrier_count 0
		.amdhsa_reserve_vcc 1
		.amdhsa_float_round_mode_32 0
		.amdhsa_float_round_mode_16_64 0
		.amdhsa_float_denorm_mode_32 3
		.amdhsa_float_denorm_mode_16_64 3
		.amdhsa_fp16_overflow 0
		.amdhsa_memory_ordered 1
		.amdhsa_forward_progress 1
		.amdhsa_inst_pref_size 4
		.amdhsa_round_robin_scheduling 0
		.amdhsa_exception_fp_ieee_invalid_op 0
		.amdhsa_exception_fp_denorm_src 0
		.amdhsa_exception_fp_ieee_div_zero 0
		.amdhsa_exception_fp_ieee_overflow 0
		.amdhsa_exception_fp_ieee_underflow 0
		.amdhsa_exception_fp_ieee_inexact 0
		.amdhsa_exception_int_div_zero 0
	.end_amdhsa_kernel
	.text
.Lfunc_end2:
	.size	batched_transpose_16x16_byte, .Lfunc_end2-batched_transpose_16x16_byte
                                        ; -- End function
	.set batched_transpose_16x16_byte.num_vgpr, 12
	.set batched_transpose_16x16_byte.num_agpr, 0
	.set batched_transpose_16x16_byte.numbered_sgpr, 28
	.set batched_transpose_16x16_byte.num_named_barrier, 0
	.set batched_transpose_16x16_byte.private_seg_size, 0
	.set batched_transpose_16x16_byte.uses_vcc, 1
	.set batched_transpose_16x16_byte.uses_flat_scratch, 0
	.set batched_transpose_16x16_byte.has_dyn_sized_stack, 0
	.set batched_transpose_16x16_byte.has_recursion, 0
	.set batched_transpose_16x16_byte.has_indirect_call, 0
	.section	.AMDGPU.csdata,"",@progbits
; Kernel info:
; codeLenInByte = 496
; TotalNumSgprs: 30
; NumVgprs: 12
; ScratchSize: 0
; MemoryBound: 0
; FloatMode: 240
; IeeeMode: 1
; LDSByteSize: 320 bytes/workgroup (compile time only)
; SGPRBlocks: 0
; VGPRBlocks: 0
; NumSGPRsForWavesPerEU: 30
; NumVGPRsForWavesPerEU: 12
; NamedBarCnt: 0
; Occupancy: 16
; WaveLimiterHint : 0
; COMPUTE_PGM_RSRC2:SCRATCH_EN: 0
; COMPUTE_PGM_RSRC2:USER_SGPR: 2
; COMPUTE_PGM_RSRC2:TRAP_HANDLER: 0
; COMPUTE_PGM_RSRC2:TGID_X_EN: 1
; COMPUTE_PGM_RSRC2:TGID_Y_EN: 0
; COMPUTE_PGM_RSRC2:TGID_Z_EN: 0
; COMPUTE_PGM_RSRC2:TIDIG_COMP_CNT: 0
	.text
	.protected	batched_transpose_32x16_dword ; -- Begin function batched_transpose_32x16_dword
	.globl	batched_transpose_32x16_dword
	.p2align	8
	.type	batched_transpose_32x16_dword,@function
batched_transpose_32x16_dword:          ; @batched_transpose_32x16_dword
; %bb.0:
	s_load_b256 s[4:11], s[0:1], 0x10
	s_bfe_u32 s2, ttmp6, 0x4000c
	s_and_b32 s3, ttmp6, 15
	s_add_co_i32 s2, s2, 1
	s_getreg_b32 s12, hwreg(HW_REG_IB_STS2, 6, 4)
	s_mul_i32 s2, ttmp9, s2
	s_delay_alu instid0(SALU_CYCLE_1)
	s_add_co_i32 s3, s3, s2
	s_cmp_eq_u32 s12, 0
	s_cselect_b32 s2, ttmp9, s3
	s_mov_b32 s3, 0
	s_wait_kmcnt 0x0
	s_cmp_ge_u32 s2, s7
	s_cbranch_scc1 .LBB3_11
; %bb.1:
	s_load_b128 s[12:15], s[0:1], 0x0
	v_dual_lshrrev_b32 v7, 4, v0 :: v_dual_bitop2_b32 v6, 15, v0 bitop3:0x40
	v_mov_b32_e32 v1, 0
	s_add_co_i32 s22, s5, 31
	s_lshl_b32 s20, s4, 4
	s_delay_alu instid0(VALU_DEP_2)
	v_dual_lshlrev_b32 v0, 2, v6 :: v_dual_lshlrev_b32 v2, 2, v7
	s_mov_b32 s21, s3
	s_wait_xcnt 0x0
	s_add_co_i32 s0, s4, 15
	s_lshl_b64 s[20:21], s[20:21], 2
	v_mad_u32_u24 v8, 0x44, v7, v0
	v_mad_u32_u24 v9, 0x44, v6, v2
	s_and_not1_b32 s22, s22, 31
	s_mov_b32 s16, s10
	s_mov_b32 s17, s3
	;; [unrolled: 1-line block ×5, first 2 shown]
	s_lshr_b32 s8, s0, 4
	s_wait_kmcnt 0x0
	s_add_nc_u64 s[20:21], s[12:13], s[20:21]
	s_sub_co_i32 s10, 0, s22
	s_lshl_b32 s22, s2, 5
	s_lshl_b32 s23, s6, 5
                                        ; implicit-def: $vgpr10
                                        ; implicit-def: $vgpr11
	s_branch .LBB3_3
.LBB3_2:                                ;   in Loop: Header=BB3_3 Depth=1
	s_wait_xcnt 0x0
	s_or_b32 exec_lo, exec_lo, s0
	s_add_co_i32 s2, s2, s6
	s_add_co_i32 s22, s22, s23
	s_cmp_lt_u32 s2, s7
	s_cbranch_scc0 .LBB3_11
.LBB3_3:                                ; =>This Inner Loop Header: Depth=1
	s_mul_u64 s[24:25], s[16:17], s[2:3]
	s_mov_b32 s27, s3
	s_add_co_i32 s0, s2, s25
	s_delay_alu instid0(SALU_CYCLE_1) | instskip(SKIP_4) | instid1(SALU_CYCLE_1)
	s_lshr_b32 s26, s0, s11
	s_barrier_signal -1
	s_mul_u64 s[24:25], s[26:27], s[18:19]
	s_barrier_wait -1
	s_add_co_i32 s0, s26, s25
	s_lshr_b32 s24, s0, s9
	v_mov_b32_e32 v3, v1
	s_mul_i32 s0, s24, s8
	s_delay_alu instid0(SALU_CYCLE_1) | instskip(SKIP_4) | instid1(VALU_DEP_2)
	s_sub_co_i32 s0, s26, s0
	s_mul_i32 s26, s10, s26
	s_lshl_b32 s25, s0, 4
	v_add3_u32 v2, s26, s22, v6
	v_or_b32_e32 v0, s25, v7
	v_cmp_gt_u32_e64 s0, s5, v2
	s_wait_dscnt 0x0
	s_delay_alu instid0(VALU_DEP_2) | instskip(SKIP_2) | instid1(VALU_DEP_2)
	v_mad_nc_u64_u32 v[4:5], s24, s4, v[0:1]
	v_cmp_gt_u32_e32 vcc_lo, s4, v0
	s_and_b32 s27, vcc_lo, s0
	v_mad_nc_u64_u32 v[12:13], v4, s1, v[2:3]
	s_delay_alu instid0(VALU_DEP_1) | instskip(NEXT) | instid1(VALU_DEP_1)
	v_mad_u32 v13, v5, s1, v13
	v_lshl_add_u64 v[4:5], v[12:13], 2, s[14:15]
	s_and_saveexec_b32 s0, s27
	s_cbranch_execz .LBB3_5
; %bb.4:                                ;   in Loop: Header=BB3_3 Depth=1
	global_load_b32 v11, v[4:5], off
.LBB3_5:                                ;   in Loop: Header=BB3_3 Depth=1
	s_wait_xcnt 0x0
	s_or_b32 exec_lo, exec_lo, s0
	v_add_nc_u32_e32 v0, 16, v2
	s_delay_alu instid0(VALU_DEP_1) | instskip(SKIP_1) | instid1(SALU_CYCLE_1)
	v_cmp_gt_u32_e64 s0, s5, v0
	s_and_b32 s27, vcc_lo, s0
	s_and_saveexec_b32 s0, s27
	s_cbranch_execz .LBB3_7
; %bb.6:                                ;   in Loop: Header=BB3_3 Depth=1
	global_load_b32 v10, v[4:5], off offset:64
.LBB3_7:                                ;   in Loop: Header=BB3_3 Depth=1
	s_wait_xcnt 0x0
	s_or_b32 exec_lo, exec_lo, s0
	v_add3_u32 v0, s26, s22, v7
	v_dual_mov_b32 v13, v1 :: v_dual_bitop2_b32 v12, s25, v6 bitop3:0x54
	s_wait_loadcnt 0x0
	ds_store_b32 v8, v11
	ds_store_b32 v8, v10 offset:1088
	s_wait_dscnt 0x0
	v_mad_nc_u64_u32 v[4:5], s24, s1, v[0:1]
	s_barrier_signal -1
	s_barrier_wait -1
	v_cmp_gt_u32_e32 vcc_lo, s4, v12
	v_cmp_gt_u32_e64 s0, s5, v0
	s_and_b32 s24, s0, vcc_lo
	v_mad_nc_u64_u32 v[2:3], v4, s4, v[12:13]
	ds_load_b32 v4, v9 offset:1088
	v_mad_u32 v3, v5, s4, v3
	s_and_saveexec_b32 s0, s24
	s_cbranch_execz .LBB3_9
; %bb.8:                                ;   in Loop: Header=BB3_3 Depth=1
	ds_load_b32 v5, v9
	v_lshl_add_u64 v[12:13], v[2:3], 2, s[12:13]
	s_wait_dscnt 0x0
	global_store_b32 v[12:13], v5, off
.LBB3_9:                                ;   in Loop: Header=BB3_3 Depth=1
	s_wait_xcnt 0x0
	s_or_b32 exec_lo, exec_lo, s0
	v_add_nc_u32_e32 v0, 16, v0
	s_delay_alu instid0(VALU_DEP_1) | instskip(SKIP_1) | instid1(SALU_CYCLE_1)
	v_cmp_gt_u32_e64 s0, s5, v0
	s_and_b32 s24, s0, vcc_lo
	s_and_saveexec_b32 s0, s24
	s_cbranch_execz .LBB3_2
; %bb.10:                               ;   in Loop: Header=BB3_3 Depth=1
	v_lshl_add_u64 v[2:3], v[2:3], 2, s[20:21]
	s_wait_dscnt 0x0
	global_store_b32 v[2:3], v4, off
	s_branch .LBB3_2
.LBB3_11:
	s_endpgm
	.section	.rodata,"a",@progbits
	.p2align	6, 0x0
	.amdhsa_kernel batched_transpose_32x16_dword
		.amdhsa_group_segment_fixed_size 2176
		.amdhsa_private_segment_fixed_size 0
		.amdhsa_kernarg_size 48
		.amdhsa_user_sgpr_count 2
		.amdhsa_user_sgpr_dispatch_ptr 0
		.amdhsa_user_sgpr_queue_ptr 0
		.amdhsa_user_sgpr_kernarg_segment_ptr 1
		.amdhsa_user_sgpr_dispatch_id 0
		.amdhsa_user_sgpr_kernarg_preload_length 0
		.amdhsa_user_sgpr_kernarg_preload_offset 0
		.amdhsa_user_sgpr_private_segment_size 0
		.amdhsa_wavefront_size32 1
		.amdhsa_uses_dynamic_stack 0
		.amdhsa_enable_private_segment 0
		.amdhsa_system_sgpr_workgroup_id_x 1
		.amdhsa_system_sgpr_workgroup_id_y 0
		.amdhsa_system_sgpr_workgroup_id_z 0
		.amdhsa_system_sgpr_workgroup_info 0
		.amdhsa_system_vgpr_workitem_id 0
		.amdhsa_next_free_vgpr 14
		.amdhsa_next_free_sgpr 28
		.amdhsa_named_barrier_count 0
		.amdhsa_reserve_vcc 1
		.amdhsa_float_round_mode_32 0
		.amdhsa_float_round_mode_16_64 0
		.amdhsa_float_denorm_mode_32 3
		.amdhsa_float_denorm_mode_16_64 3
		.amdhsa_fp16_overflow 0
		.amdhsa_memory_ordered 1
		.amdhsa_forward_progress 1
		.amdhsa_inst_pref_size 6
		.amdhsa_round_robin_scheduling 0
		.amdhsa_exception_fp_ieee_invalid_op 0
		.amdhsa_exception_fp_denorm_src 0
		.amdhsa_exception_fp_ieee_div_zero 0
		.amdhsa_exception_fp_ieee_overflow 0
		.amdhsa_exception_fp_ieee_underflow 0
		.amdhsa_exception_fp_ieee_inexact 0
		.amdhsa_exception_int_div_zero 0
	.end_amdhsa_kernel
	.text
.Lfunc_end3:
	.size	batched_transpose_32x16_dword, .Lfunc_end3-batched_transpose_32x16_dword
                                        ; -- End function
	.set batched_transpose_32x16_dword.num_vgpr, 14
	.set batched_transpose_32x16_dword.num_agpr, 0
	.set batched_transpose_32x16_dword.numbered_sgpr, 28
	.set batched_transpose_32x16_dword.num_named_barrier, 0
	.set batched_transpose_32x16_dword.private_seg_size, 0
	.set batched_transpose_32x16_dword.uses_vcc, 1
	.set batched_transpose_32x16_dword.uses_flat_scratch, 0
	.set batched_transpose_32x16_dword.has_dyn_sized_stack, 0
	.set batched_transpose_32x16_dword.has_recursion, 0
	.set batched_transpose_32x16_dword.has_indirect_call, 0
	.section	.AMDGPU.csdata,"",@progbits
; Kernel info:
; codeLenInByte = 648
; TotalNumSgprs: 30
; NumVgprs: 14
; ScratchSize: 0
; MemoryBound: 0
; FloatMode: 240
; IeeeMode: 1
; LDSByteSize: 2176 bytes/workgroup (compile time only)
; SGPRBlocks: 0
; VGPRBlocks: 0
; NumSGPRsForWavesPerEU: 30
; NumVGPRsForWavesPerEU: 14
; NamedBarCnt: 0
; Occupancy: 16
; WaveLimiterHint : 0
; COMPUTE_PGM_RSRC2:SCRATCH_EN: 0
; COMPUTE_PGM_RSRC2:USER_SGPR: 2
; COMPUTE_PGM_RSRC2:TRAP_HANDLER: 0
; COMPUTE_PGM_RSRC2:TGID_X_EN: 1
; COMPUTE_PGM_RSRC2:TGID_Y_EN: 0
; COMPUTE_PGM_RSRC2:TGID_Z_EN: 0
; COMPUTE_PGM_RSRC2:TIDIG_COMP_CNT: 0
	.text
	.protected	batched_transpose_32x16_half ; -- Begin function batched_transpose_32x16_half
	.globl	batched_transpose_32x16_half
	.p2align	8
	.type	batched_transpose_32x16_half,@function
batched_transpose_32x16_half:           ; @batched_transpose_32x16_half
; %bb.0:
	s_load_b256 s[4:11], s[0:1], 0x10
	s_bfe_u32 s2, ttmp6, 0x4000c
	s_and_b32 s3, ttmp6, 15
	s_add_co_i32 s2, s2, 1
	s_getreg_b32 s12, hwreg(HW_REG_IB_STS2, 6, 4)
	s_mul_i32 s2, ttmp9, s2
	s_delay_alu instid0(SALU_CYCLE_1)
	s_add_co_i32 s3, s3, s2
	s_cmp_eq_u32 s12, 0
	s_cselect_b32 s2, ttmp9, s3
	s_mov_b32 s3, 0
	s_wait_kmcnt 0x0
	s_cmp_ge_u32 s2, s7
	s_cbranch_scc1 .LBB4_11
; %bb.1:
	s_load_b128 s[12:15], s[0:1], 0x0
	v_dual_lshrrev_b32 v7, 4, v0 :: v_dual_bitop2_b32 v6, 15, v0 bitop3:0x40
	v_mov_b32_e32 v1, 0
	s_add_co_i32 s22, s5, 31
	s_lshl_b32 s20, s4, 4
	s_delay_alu instid0(VALU_DEP_2)
	v_dual_lshlrev_b32 v0, 1, v6 :: v_dual_lshlrev_b32 v2, 1, v7
	s_mov_b32 s21, s3
	s_wait_xcnt 0x0
	s_add_co_i32 s0, s4, 15
	s_lshl_b64 s[20:21], s[20:21], 1
	v_mad_u32_u24 v8, v7, 36, v0
	v_mad_u32_u24 v9, v6, 36, v2
	s_and_not1_b32 s22, s22, 31
	s_mov_b32 s16, s10
	s_mov_b32 s17, s3
	s_mov_b32 s18, s8
	s_mov_b32 s19, s3
	s_mov_b32 s1, s5
	s_lshr_b32 s8, s0, 4
	s_wait_kmcnt 0x0
	s_add_nc_u64 s[20:21], s[12:13], s[20:21]
	s_sub_co_i32 s10, 0, s22
	s_lshl_b32 s22, s2, 5
	s_lshl_b32 s23, s6, 5
                                        ; implicit-def: $vgpr10
                                        ; implicit-def: $vgpr11
	s_branch .LBB4_3
.LBB4_2:                                ;   in Loop: Header=BB4_3 Depth=1
	s_wait_xcnt 0x0
	s_or_b32 exec_lo, exec_lo, s0
	s_add_co_i32 s2, s2, s6
	s_add_co_i32 s22, s22, s23
	s_cmp_lt_u32 s2, s7
	s_cbranch_scc0 .LBB4_11
.LBB4_3:                                ; =>This Inner Loop Header: Depth=1
	s_mul_u64 s[24:25], s[16:17], s[2:3]
	s_mov_b32 s27, s3
	s_add_co_i32 s0, s2, s25
	s_delay_alu instid0(SALU_CYCLE_1) | instskip(SKIP_4) | instid1(SALU_CYCLE_1)
	s_lshr_b32 s26, s0, s11
	s_barrier_signal -1
	s_mul_u64 s[24:25], s[26:27], s[18:19]
	s_barrier_wait -1
	s_add_co_i32 s0, s26, s25
	s_lshr_b32 s24, s0, s9
	v_mov_b32_e32 v3, v1
	s_mul_i32 s0, s24, s8
	s_delay_alu instid0(SALU_CYCLE_1) | instskip(SKIP_4) | instid1(VALU_DEP_2)
	s_sub_co_i32 s0, s26, s0
	s_mul_i32 s26, s10, s26
	s_lshl_b32 s25, s0, 4
	v_add3_u32 v2, s26, s22, v6
	v_or_b32_e32 v0, s25, v7
	v_cmp_gt_u32_e64 s0, s5, v2
	s_wait_dscnt 0x0
	s_delay_alu instid0(VALU_DEP_2) | instskip(SKIP_2) | instid1(VALU_DEP_2)
	v_mad_nc_u64_u32 v[4:5], s24, s4, v[0:1]
	v_cmp_gt_u32_e32 vcc_lo, s4, v0
	s_and_b32 s27, vcc_lo, s0
	v_mad_nc_u64_u32 v[12:13], v4, s1, v[2:3]
	s_delay_alu instid0(VALU_DEP_1) | instskip(NEXT) | instid1(VALU_DEP_1)
	v_mad_u32 v13, v5, s1, v13
	v_lshl_add_u64 v[4:5], v[12:13], 1, s[14:15]
	s_and_saveexec_b32 s0, s27
	s_cbranch_execz .LBB4_5
; %bb.4:                                ;   in Loop: Header=BB4_3 Depth=1
	global_load_u16 v11, v[4:5], off
.LBB4_5:                                ;   in Loop: Header=BB4_3 Depth=1
	s_wait_xcnt 0x0
	s_or_b32 exec_lo, exec_lo, s0
	v_add_nc_u32_e32 v0, 16, v2
	s_delay_alu instid0(VALU_DEP_1) | instskip(SKIP_1) | instid1(SALU_CYCLE_1)
	v_cmp_gt_u32_e64 s0, s5, v0
	s_and_b32 s27, vcc_lo, s0
	s_and_saveexec_b32 s0, s27
	s_cbranch_execz .LBB4_7
; %bb.6:                                ;   in Loop: Header=BB4_3 Depth=1
	global_load_u16 v10, v[4:5], off offset:32
.LBB4_7:                                ;   in Loop: Header=BB4_3 Depth=1
	s_wait_xcnt 0x0
	s_or_b32 exec_lo, exec_lo, s0
	v_add3_u32 v0, s26, s22, v7
	v_dual_mov_b32 v13, v1 :: v_dual_bitop2_b32 v12, s25, v6 bitop3:0x54
	s_wait_loadcnt 0x0
	ds_store_b16 v8, v11
	ds_store_b16 v8, v10 offset:576
	s_wait_dscnt 0x0
	v_mad_nc_u64_u32 v[4:5], s24, s1, v[0:1]
	s_barrier_signal -1
	s_barrier_wait -1
	v_cmp_gt_u32_e32 vcc_lo, s4, v12
	v_cmp_gt_u32_e64 s0, s5, v0
	s_and_b32 s24, s0, vcc_lo
	v_mad_nc_u64_u32 v[2:3], v4, s4, v[12:13]
	ds_load_u16 v4, v9 offset:576
	v_mad_u32 v3, v5, s4, v3
	s_and_saveexec_b32 s0, s24
	s_cbranch_execz .LBB4_9
; %bb.8:                                ;   in Loop: Header=BB4_3 Depth=1
	ds_load_u16 v5, v9
	v_lshl_add_u64 v[12:13], v[2:3], 1, s[12:13]
	s_wait_dscnt 0x0
	global_store_b16 v[12:13], v5, off
.LBB4_9:                                ;   in Loop: Header=BB4_3 Depth=1
	s_wait_xcnt 0x0
	s_or_b32 exec_lo, exec_lo, s0
	v_add_nc_u32_e32 v0, 16, v0
	s_delay_alu instid0(VALU_DEP_1) | instskip(SKIP_1) | instid1(SALU_CYCLE_1)
	v_cmp_gt_u32_e64 s0, s5, v0
	s_and_b32 s24, s0, vcc_lo
	s_and_saveexec_b32 s0, s24
	s_cbranch_execz .LBB4_2
; %bb.10:                               ;   in Loop: Header=BB4_3 Depth=1
	v_lshl_add_u64 v[2:3], v[2:3], 1, s[20:21]
	s_wait_dscnt 0x0
	global_store_b16 v[2:3], v4, off
	s_branch .LBB4_2
.LBB4_11:
	s_endpgm
	.section	.rodata,"a",@progbits
	.p2align	6, 0x0
	.amdhsa_kernel batched_transpose_32x16_half
		.amdhsa_group_segment_fixed_size 1152
		.amdhsa_private_segment_fixed_size 0
		.amdhsa_kernarg_size 48
		.amdhsa_user_sgpr_count 2
		.amdhsa_user_sgpr_dispatch_ptr 0
		.amdhsa_user_sgpr_queue_ptr 0
		.amdhsa_user_sgpr_kernarg_segment_ptr 1
		.amdhsa_user_sgpr_dispatch_id 0
		.amdhsa_user_sgpr_kernarg_preload_length 0
		.amdhsa_user_sgpr_kernarg_preload_offset 0
		.amdhsa_user_sgpr_private_segment_size 0
		.amdhsa_wavefront_size32 1
		.amdhsa_uses_dynamic_stack 0
		.amdhsa_enable_private_segment 0
		.amdhsa_system_sgpr_workgroup_id_x 1
		.amdhsa_system_sgpr_workgroup_id_y 0
		.amdhsa_system_sgpr_workgroup_id_z 0
		.amdhsa_system_sgpr_workgroup_info 0
		.amdhsa_system_vgpr_workitem_id 0
		.amdhsa_next_free_vgpr 14
		.amdhsa_next_free_sgpr 28
		.amdhsa_named_barrier_count 0
		.amdhsa_reserve_vcc 1
		.amdhsa_float_round_mode_32 0
		.amdhsa_float_round_mode_16_64 0
		.amdhsa_float_denorm_mode_32 3
		.amdhsa_float_denorm_mode_16_64 3
		.amdhsa_fp16_overflow 0
		.amdhsa_memory_ordered 1
		.amdhsa_forward_progress 1
		.amdhsa_inst_pref_size 5
		.amdhsa_round_robin_scheduling 0
		.amdhsa_exception_fp_ieee_invalid_op 0
		.amdhsa_exception_fp_denorm_src 0
		.amdhsa_exception_fp_ieee_div_zero 0
		.amdhsa_exception_fp_ieee_overflow 0
		.amdhsa_exception_fp_ieee_underflow 0
		.amdhsa_exception_fp_ieee_inexact 0
		.amdhsa_exception_int_div_zero 0
	.end_amdhsa_kernel
	.text
.Lfunc_end4:
	.size	batched_transpose_32x16_half, .Lfunc_end4-batched_transpose_32x16_half
                                        ; -- End function
	.set batched_transpose_32x16_half.num_vgpr, 14
	.set batched_transpose_32x16_half.num_agpr, 0
	.set batched_transpose_32x16_half.numbered_sgpr, 28
	.set batched_transpose_32x16_half.num_named_barrier, 0
	.set batched_transpose_32x16_half.private_seg_size, 0
	.set batched_transpose_32x16_half.uses_vcc, 1
	.set batched_transpose_32x16_half.uses_flat_scratch, 0
	.set batched_transpose_32x16_half.has_dyn_sized_stack, 0
	.set batched_transpose_32x16_half.has_recursion, 0
	.set batched_transpose_32x16_half.has_indirect_call, 0
	.section	.AMDGPU.csdata,"",@progbits
; Kernel info:
; codeLenInByte = 640
; TotalNumSgprs: 30
; NumVgprs: 14
; ScratchSize: 0
; MemoryBound: 0
; FloatMode: 240
; IeeeMode: 1
; LDSByteSize: 1152 bytes/workgroup (compile time only)
; SGPRBlocks: 0
; VGPRBlocks: 0
; NumSGPRsForWavesPerEU: 30
; NumVGPRsForWavesPerEU: 14
; NamedBarCnt: 0
; Occupancy: 16
; WaveLimiterHint : 0
; COMPUTE_PGM_RSRC2:SCRATCH_EN: 0
; COMPUTE_PGM_RSRC2:USER_SGPR: 2
; COMPUTE_PGM_RSRC2:TRAP_HANDLER: 0
; COMPUTE_PGM_RSRC2:TGID_X_EN: 1
; COMPUTE_PGM_RSRC2:TGID_Y_EN: 0
; COMPUTE_PGM_RSRC2:TGID_Z_EN: 0
; COMPUTE_PGM_RSRC2:TIDIG_COMP_CNT: 0
	.text
	.protected	batched_transpose_32x16_byte ; -- Begin function batched_transpose_32x16_byte
	.globl	batched_transpose_32x16_byte
	.p2align	8
	.type	batched_transpose_32x16_byte,@function
batched_transpose_32x16_byte:           ; @batched_transpose_32x16_byte
; %bb.0:
	s_load_b256 s[4:11], s[0:1], 0x10
	s_bfe_u32 s2, ttmp6, 0x4000c
	s_and_b32 s3, ttmp6, 15
	s_add_co_i32 s2, s2, 1
	s_getreg_b32 s12, hwreg(HW_REG_IB_STS2, 6, 4)
	s_mul_i32 s2, ttmp9, s2
	s_delay_alu instid0(SALU_CYCLE_1)
	s_add_co_i32 s3, s3, s2
	s_cmp_eq_u32 s12, 0
	s_cselect_b32 s2, ttmp9, s3
	s_mov_b32 s3, 0
	s_wait_kmcnt 0x0
	s_cmp_ge_u32 s2, s7
	s_cbranch_scc1 .LBB5_11
; %bb.1:
	s_load_b128 s[12:15], s[0:1], 0x0
	v_dual_lshrrev_b32 v7, 4, v0 :: v_dual_bitop2_b32 v6, 15, v0 bitop3:0x40
	s_add_co_i32 s22, s5, 31
	s_wait_xcnt 0x0
	s_add_co_i32 s0, s4, 15
	s_lshl_b32 s20, s4, 4
	v_mul_u32_u24_e32 v2, 20, v6
	v_mul_u32_u24_e32 v0, 20, v7
	v_mov_b32_e32 v1, 0
	s_mov_b32 s21, s3
	s_and_not1_b32 s22, s22, 31
	s_delay_alu instid0(VALU_DEP_2)
	v_dual_add_nc_u32 v9, v2, v7 :: v_dual_add_nc_u32 v8, v0, v6
	s_mov_b32 s16, s10
	s_mov_b32 s17, s3
	;; [unrolled: 1-line block ×5, first 2 shown]
	s_lshr_b32 s8, s0, 4
	s_sub_co_i32 s10, 0, s22
	s_wait_kmcnt 0x0
	s_add_nc_u64 s[20:21], s[12:13], s[20:21]
	s_lshl_b32 s22, s2, 5
	s_lshl_b32 s23, s6, 5
                                        ; implicit-def: $vgpr10
                                        ; implicit-def: $vgpr11
	s_branch .LBB5_3
.LBB5_2:                                ;   in Loop: Header=BB5_3 Depth=1
	s_wait_xcnt 0x0
	s_or_b32 exec_lo, exec_lo, s0
	s_add_co_i32 s2, s2, s6
	s_add_co_i32 s22, s22, s23
	s_cmp_lt_u32 s2, s7
	s_cbranch_scc0 .LBB5_11
.LBB5_3:                                ; =>This Inner Loop Header: Depth=1
	s_mul_u64 s[24:25], s[16:17], s[2:3]
	s_mov_b32 s27, s3
	s_add_co_i32 s0, s2, s25
	s_delay_alu instid0(SALU_CYCLE_1) | instskip(SKIP_4) | instid1(SALU_CYCLE_1)
	s_lshr_b32 s26, s0, s11
	s_barrier_signal -1
	s_mul_u64 s[24:25], s[26:27], s[18:19]
	s_barrier_wait -1
	s_add_co_i32 s0, s26, s25
	s_lshr_b32 s24, s0, s9
	v_mov_b32_e32 v3, v1
	s_mul_i32 s0, s24, s8
	s_delay_alu instid0(SALU_CYCLE_1) | instskip(SKIP_4) | instid1(VALU_DEP_2)
	s_sub_co_i32 s0, s26, s0
	s_mul_i32 s26, s10, s26
	s_lshl_b32 s25, s0, 4
	v_add3_u32 v2, s26, s22, v6
	v_or_b32_e32 v0, s25, v7
	v_cmp_gt_u32_e64 s0, s5, v2
	s_wait_dscnt 0x0
	s_delay_alu instid0(VALU_DEP_2) | instskip(SKIP_2) | instid1(VALU_DEP_2)
	v_mad_nc_u64_u32 v[4:5], s24, s4, v[0:1]
	v_cmp_gt_u32_e32 vcc_lo, s4, v0
	s_and_b32 s27, vcc_lo, s0
	v_mad_nc_u64_u32 v[12:13], v4, s1, v[2:3]
	s_delay_alu instid0(VALU_DEP_1) | instskip(NEXT) | instid1(VALU_DEP_1)
	v_mad_u32 v13, v5, s1, v13
	v_add_nc_u64_e32 v[4:5], s[14:15], v[12:13]
	s_and_saveexec_b32 s0, s27
	s_cbranch_execz .LBB5_5
; %bb.4:                                ;   in Loop: Header=BB5_3 Depth=1
	global_load_u8 v11, v[4:5], off
.LBB5_5:                                ;   in Loop: Header=BB5_3 Depth=1
	s_wait_xcnt 0x0
	s_or_b32 exec_lo, exec_lo, s0
	v_add_nc_u32_e32 v0, 16, v2
	s_delay_alu instid0(VALU_DEP_1) | instskip(SKIP_1) | instid1(SALU_CYCLE_1)
	v_cmp_gt_u32_e64 s0, s5, v0
	s_and_b32 s27, vcc_lo, s0
	s_and_saveexec_b32 s0, s27
	s_cbranch_execz .LBB5_7
; %bb.6:                                ;   in Loop: Header=BB5_3 Depth=1
	global_load_u8 v10, v[4:5], off offset:16
.LBB5_7:                                ;   in Loop: Header=BB5_3 Depth=1
	s_wait_xcnt 0x0
	s_or_b32 exec_lo, exec_lo, s0
	v_add3_u32 v0, s26, s22, v7
	v_dual_mov_b32 v13, v1 :: v_dual_bitop2_b32 v12, s25, v6 bitop3:0x54
	s_wait_loadcnt 0x0
	ds_store_b8 v8, v11
	ds_store_b8 v8, v10 offset:320
	s_wait_dscnt 0x0
	v_mad_nc_u64_u32 v[4:5], s24, s1, v[0:1]
	s_barrier_signal -1
	s_barrier_wait -1
	v_cmp_gt_u32_e32 vcc_lo, s4, v12
	v_cmp_gt_u32_e64 s0, s5, v0
	s_and_b32 s24, s0, vcc_lo
	v_mad_nc_u64_u32 v[2:3], v4, s4, v[12:13]
	ds_load_u8 v4, v9 offset:320
	v_mad_u32 v3, v5, s4, v3
	s_and_saveexec_b32 s0, s24
	s_cbranch_execz .LBB5_9
; %bb.8:                                ;   in Loop: Header=BB5_3 Depth=1
	ds_load_u8 v5, v9
	v_add_nc_u64_e32 v[12:13], s[12:13], v[2:3]
	s_wait_dscnt 0x0
	global_store_b8 v[12:13], v5, off
.LBB5_9:                                ;   in Loop: Header=BB5_3 Depth=1
	s_wait_xcnt 0x0
	s_or_b32 exec_lo, exec_lo, s0
	v_add_nc_u32_e32 v0, 16, v0
	s_delay_alu instid0(VALU_DEP_1) | instskip(SKIP_1) | instid1(SALU_CYCLE_1)
	v_cmp_gt_u32_e64 s0, s5, v0
	s_and_b32 s24, s0, vcc_lo
	s_and_saveexec_b32 s0, s24
	s_cbranch_execz .LBB5_2
; %bb.10:                               ;   in Loop: Header=BB5_3 Depth=1
	v_add_nc_u64_e32 v[2:3], s[20:21], v[2:3]
	s_wait_dscnt 0x0
	global_store_b8 v[2:3], v4, off
	s_branch .LBB5_2
.LBB5_11:
	s_endpgm
	.section	.rodata,"a",@progbits
	.p2align	6, 0x0
	.amdhsa_kernel batched_transpose_32x16_byte
		.amdhsa_group_segment_fixed_size 640
		.amdhsa_private_segment_fixed_size 0
		.amdhsa_kernarg_size 48
		.amdhsa_user_sgpr_count 2
		.amdhsa_user_sgpr_dispatch_ptr 0
		.amdhsa_user_sgpr_queue_ptr 0
		.amdhsa_user_sgpr_kernarg_segment_ptr 1
		.amdhsa_user_sgpr_dispatch_id 0
		.amdhsa_user_sgpr_kernarg_preload_length 0
		.amdhsa_user_sgpr_kernarg_preload_offset 0
		.amdhsa_user_sgpr_private_segment_size 0
		.amdhsa_wavefront_size32 1
		.amdhsa_uses_dynamic_stack 0
		.amdhsa_enable_private_segment 0
		.amdhsa_system_sgpr_workgroup_id_x 1
		.amdhsa_system_sgpr_workgroup_id_y 0
		.amdhsa_system_sgpr_workgroup_id_z 0
		.amdhsa_system_sgpr_workgroup_info 0
		.amdhsa_system_vgpr_workitem_id 0
		.amdhsa_next_free_vgpr 14
		.amdhsa_next_free_sgpr 28
		.amdhsa_named_barrier_count 0
		.amdhsa_reserve_vcc 1
		.amdhsa_float_round_mode_32 0
		.amdhsa_float_round_mode_16_64 0
		.amdhsa_float_denorm_mode_32 3
		.amdhsa_float_denorm_mode_16_64 3
		.amdhsa_fp16_overflow 0
		.amdhsa_memory_ordered 1
		.amdhsa_forward_progress 1
		.amdhsa_inst_pref_size 5
		.amdhsa_round_robin_scheduling 0
		.amdhsa_exception_fp_ieee_invalid_op 0
		.amdhsa_exception_fp_denorm_src 0
		.amdhsa_exception_fp_ieee_div_zero 0
		.amdhsa_exception_fp_ieee_overflow 0
		.amdhsa_exception_fp_ieee_underflow 0
		.amdhsa_exception_fp_ieee_inexact 0
		.amdhsa_exception_int_div_zero 0
	.end_amdhsa_kernel
	.text
.Lfunc_end5:
	.size	batched_transpose_32x16_byte, .Lfunc_end5-batched_transpose_32x16_byte
                                        ; -- End function
	.set batched_transpose_32x16_byte.num_vgpr, 14
	.set batched_transpose_32x16_byte.num_agpr, 0
	.set batched_transpose_32x16_byte.numbered_sgpr, 28
	.set batched_transpose_32x16_byte.num_named_barrier, 0
	.set batched_transpose_32x16_byte.private_seg_size, 0
	.set batched_transpose_32x16_byte.uses_vcc, 1
	.set batched_transpose_32x16_byte.uses_flat_scratch, 0
	.set batched_transpose_32x16_byte.has_dyn_sized_stack, 0
	.set batched_transpose_32x16_byte.has_recursion, 0
	.set batched_transpose_32x16_byte.has_indirect_call, 0
	.section	.AMDGPU.csdata,"",@progbits
; Kernel info:
; codeLenInByte = 616
; TotalNumSgprs: 30
; NumVgprs: 14
; ScratchSize: 0
; MemoryBound: 0
; FloatMode: 240
; IeeeMode: 1
; LDSByteSize: 640 bytes/workgroup (compile time only)
; SGPRBlocks: 0
; VGPRBlocks: 0
; NumSGPRsForWavesPerEU: 30
; NumVGPRsForWavesPerEU: 14
; NamedBarCnt: 0
; Occupancy: 16
; WaveLimiterHint : 0
; COMPUTE_PGM_RSRC2:SCRATCH_EN: 0
; COMPUTE_PGM_RSRC2:USER_SGPR: 2
; COMPUTE_PGM_RSRC2:TRAP_HANDLER: 0
; COMPUTE_PGM_RSRC2:TGID_X_EN: 1
; COMPUTE_PGM_RSRC2:TGID_Y_EN: 0
; COMPUTE_PGM_RSRC2:TGID_Z_EN: 0
; COMPUTE_PGM_RSRC2:TIDIG_COMP_CNT: 0
	.text
	.protected	batched_transpose_16x32_dword ; -- Begin function batched_transpose_16x32_dword
	.globl	batched_transpose_16x32_dword
	.p2align	8
	.type	batched_transpose_16x32_dword,@function
batched_transpose_16x32_dword:          ; @batched_transpose_16x32_dword
; %bb.0:
	s_load_b256 s[4:11], s[0:1], 0x10
	s_bfe_u32 s2, ttmp6, 0x4000c
	s_and_b32 s3, ttmp6, 15
	s_add_co_i32 s2, s2, 1
	s_getreg_b32 s12, hwreg(HW_REG_IB_STS2, 6, 4)
	s_mul_i32 s2, ttmp9, s2
	s_delay_alu instid0(SALU_CYCLE_1)
	s_add_co_i32 s3, s3, s2
	s_cmp_eq_u32 s12, 0
	s_cselect_b32 s2, ttmp9, s3
	s_mov_b32 s3, 0
	s_wait_kmcnt 0x0
	s_cmp_ge_u32 s2, s7
	s_cbranch_scc1 .LBB6_11
; %bb.1:
	s_load_b128 s[12:15], s[0:1], 0x0
	v_dual_lshrrev_b32 v7, 4, v0 :: v_dual_bitop2_b32 v6, 15, v0 bitop3:0x40
	v_mov_b32_e32 v1, 0
	s_wait_xcnt 0x0
	s_add_co_i32 s0, s4, 31
	s_add_co_i32 s22, s5, 15
	v_dual_lshlrev_b32 v0, 2, v6 :: v_dual_lshlrev_b32 v2, 2, v7
	s_lshl_b32 s20, s5, 4
	s_mov_b32 s21, s3
	s_mov_b32 s18, s8
	s_delay_alu instid0(VALU_DEP_1)
	v_mad_u32_u24 v8, 0x44, v7, v0
	v_mad_u32_u24 v9, 0x44, v6, v2
	s_lshr_b32 s8, s0, 5
	s_lshl_b64 s[20:21], s[20:21], 2
	s_and_b32 s0, s22, -16
	s_mov_b32 s16, s10
	s_mov_b32 s17, s3
	;; [unrolled: 1-line block ×4, first 2 shown]
	s_wait_kmcnt 0x0
	s_add_nc_u64 s[20:21], s[14:15], s[20:21]
	s_sub_co_i32 s10, 0, s0
	s_lshl_b32 s22, s2, 4
	s_lshl_b32 s23, s6, 4
                                        ; implicit-def: $vgpr10
                                        ; implicit-def: $vgpr11
	s_branch .LBB6_3
.LBB6_2:                                ;   in Loop: Header=BB6_3 Depth=1
	s_wait_xcnt 0x0
	s_or_b32 exec_lo, exec_lo, s0
	s_add_co_i32 s2, s2, s6
	s_add_co_i32 s22, s22, s23
	s_cmp_lt_u32 s2, s7
	s_cbranch_scc0 .LBB6_11
.LBB6_3:                                ; =>This Inner Loop Header: Depth=1
	s_mul_u64 s[24:25], s[16:17], s[2:3]
	s_mov_b32 s27, s3
	s_add_co_i32 s0, s2, s25
	s_delay_alu instid0(SALU_CYCLE_1) | instskip(SKIP_4) | instid1(SALU_CYCLE_1)
	s_lshr_b32 s26, s0, s11
	s_barrier_signal -1
	s_mul_u64 s[24:25], s[26:27], s[18:19]
	s_barrier_wait -1
	s_add_co_i32 s0, s26, s25
	s_lshr_b32 s24, s0, s9
	v_mov_b32_e32 v13, v1
	s_mul_i32 s0, s24, s8
	s_delay_alu instid0(SALU_CYCLE_1) | instskip(SKIP_4) | instid1(VALU_DEP_2)
	s_sub_co_i32 s0, s26, s0
	s_mul_i32 s26, s10, s26
	s_lshl_b32 s25, s0, 5
	v_add3_u32 v12, s26, s22, v6
	v_or_b32_e32 v0, s25, v7
	v_cmp_gt_u32_e32 vcc_lo, s5, v12
	s_delay_alu instid0(VALU_DEP_2) | instskip(SKIP_4) | instid1(VALU_DEP_1)
	v_mad_nc_u64_u32 v[4:5], s24, s4, v[0:1]
	v_cmp_gt_u32_e64 s0, s4, v0
	s_and_b32 s27, s0, vcc_lo
	s_wait_dscnt 0x0
	v_mad_nc_u64_u32 v[2:3], v4, s1, v[12:13]
	v_mad_u32 v3, v5, s1, v3
	s_and_saveexec_b32 s0, s27
	s_cbranch_execz .LBB6_5
; %bb.4:                                ;   in Loop: Header=BB6_3 Depth=1
	s_delay_alu instid0(VALU_DEP_1)
	v_lshl_add_u64 v[4:5], v[2:3], 2, s[14:15]
	global_load_b32 v11, v[4:5], off
.LBB6_5:                                ;   in Loop: Header=BB6_3 Depth=1
	s_wait_xcnt 0x0
	s_or_b32 exec_lo, exec_lo, s0
	v_add_nc_u32_e32 v0, 16, v0
	s_delay_alu instid0(VALU_DEP_1) | instskip(SKIP_1) | instid1(SALU_CYCLE_1)
	v_cmp_gt_u32_e64 s0, s4, v0
	s_and_b32 s27, s0, vcc_lo
	s_and_saveexec_b32 s0, s27
	s_cbranch_execz .LBB6_7
; %bb.6:                                ;   in Loop: Header=BB6_3 Depth=1
	v_lshl_add_u64 v[2:3], v[2:3], 2, s[20:21]
	global_load_b32 v10, v[2:3], off
.LBB6_7:                                ;   in Loop: Header=BB6_3 Depth=1
	s_wait_xcnt 0x0
	s_or_b32 exec_lo, exec_lo, s0
	v_add3_u32 v0, s26, s22, v7
	v_dual_mov_b32 v3, v1 :: v_dual_bitop2_b32 v2, s25, v6 bitop3:0x54
	s_wait_loadcnt 0x0
	ds_store_b32 v8, v11
	ds_store_b32 v8, v10 offset:1088
	s_wait_dscnt 0x0
	v_mad_nc_u64_u32 v[4:5], s24, s1, v[0:1]
	s_barrier_signal -1
	s_barrier_wait -1
	v_cmp_gt_u32_e64 s0, s4, v2
	v_cmp_gt_u32_e32 vcc_lo, s5, v0
	s_and_b32 s24, vcc_lo, s0
	v_mad_nc_u64_u32 v[12:13], v4, s4, v[2:3]
	ds_load_b32 v3, v9 offset:1088
	v_mad_u32 v13, v5, s4, v13
	s_delay_alu instid0(VALU_DEP_1)
	v_lshl_add_u64 v[4:5], v[12:13], 2, s[12:13]
	s_and_saveexec_b32 s0, s24
	s_cbranch_execz .LBB6_9
; %bb.8:                                ;   in Loop: Header=BB6_3 Depth=1
	ds_load_b32 v0, v9
	s_wait_dscnt 0x0
	global_store_b32 v[4:5], v0, off
.LBB6_9:                                ;   in Loop: Header=BB6_3 Depth=1
	s_wait_xcnt 0x0
	s_or_b32 exec_lo, exec_lo, s0
	v_or_b32_e32 v0, 16, v2
	s_delay_alu instid0(VALU_DEP_1) | instskip(SKIP_1) | instid1(SALU_CYCLE_1)
	v_cmp_gt_u32_e64 s0, s4, v0
	s_and_b32 s24, vcc_lo, s0
	s_and_saveexec_b32 s0, s24
	s_cbranch_execz .LBB6_2
; %bb.10:                               ;   in Loop: Header=BB6_3 Depth=1
	s_wait_dscnt 0x0
	global_store_b32 v[4:5], v3, off offset:64
	s_branch .LBB6_2
.LBB6_11:
	s_endpgm
	.section	.rodata,"a",@progbits
	.p2align	6, 0x0
	.amdhsa_kernel batched_transpose_16x32_dword
		.amdhsa_group_segment_fixed_size 2176
		.amdhsa_private_segment_fixed_size 0
		.amdhsa_kernarg_size 48
		.amdhsa_user_sgpr_count 2
		.amdhsa_user_sgpr_dispatch_ptr 0
		.amdhsa_user_sgpr_queue_ptr 0
		.amdhsa_user_sgpr_kernarg_segment_ptr 1
		.amdhsa_user_sgpr_dispatch_id 0
		.amdhsa_user_sgpr_kernarg_preload_length 0
		.amdhsa_user_sgpr_kernarg_preload_offset 0
		.amdhsa_user_sgpr_private_segment_size 0
		.amdhsa_wavefront_size32 1
		.amdhsa_uses_dynamic_stack 0
		.amdhsa_enable_private_segment 0
		.amdhsa_system_sgpr_workgroup_id_x 1
		.amdhsa_system_sgpr_workgroup_id_y 0
		.amdhsa_system_sgpr_workgroup_id_z 0
		.amdhsa_system_sgpr_workgroup_info 0
		.amdhsa_system_vgpr_workitem_id 0
		.amdhsa_next_free_vgpr 14
		.amdhsa_next_free_sgpr 28
		.amdhsa_named_barrier_count 0
		.amdhsa_reserve_vcc 1
		.amdhsa_float_round_mode_32 0
		.amdhsa_float_round_mode_16_64 0
		.amdhsa_float_denorm_mode_32 3
		.amdhsa_float_denorm_mode_16_64 3
		.amdhsa_fp16_overflow 0
		.amdhsa_memory_ordered 1
		.amdhsa_forward_progress 1
		.amdhsa_inst_pref_size 6
		.amdhsa_round_robin_scheduling 0
		.amdhsa_exception_fp_ieee_invalid_op 0
		.amdhsa_exception_fp_denorm_src 0
		.amdhsa_exception_fp_ieee_div_zero 0
		.amdhsa_exception_fp_ieee_overflow 0
		.amdhsa_exception_fp_ieee_underflow 0
		.amdhsa_exception_fp_ieee_inexact 0
		.amdhsa_exception_int_div_zero 0
	.end_amdhsa_kernel
	.text
.Lfunc_end6:
	.size	batched_transpose_16x32_dword, .Lfunc_end6-batched_transpose_16x32_dword
                                        ; -- End function
	.set batched_transpose_16x32_dword.num_vgpr, 14
	.set batched_transpose_16x32_dword.num_agpr, 0
	.set batched_transpose_16x32_dword.numbered_sgpr, 28
	.set batched_transpose_16x32_dword.num_named_barrier, 0
	.set batched_transpose_16x32_dword.private_seg_size, 0
	.set batched_transpose_16x32_dword.uses_vcc, 1
	.set batched_transpose_16x32_dword.uses_flat_scratch, 0
	.set batched_transpose_16x32_dword.has_dyn_sized_stack, 0
	.set batched_transpose_16x32_dword.has_recursion, 0
	.set batched_transpose_16x32_dword.has_indirect_call, 0
	.section	.AMDGPU.csdata,"",@progbits
; Kernel info:
; codeLenInByte = 652
; TotalNumSgprs: 30
; NumVgprs: 14
; ScratchSize: 0
; MemoryBound: 0
; FloatMode: 240
; IeeeMode: 1
; LDSByteSize: 2176 bytes/workgroup (compile time only)
; SGPRBlocks: 0
; VGPRBlocks: 0
; NumSGPRsForWavesPerEU: 30
; NumVGPRsForWavesPerEU: 14
; NamedBarCnt: 0
; Occupancy: 16
; WaveLimiterHint : 0
; COMPUTE_PGM_RSRC2:SCRATCH_EN: 0
; COMPUTE_PGM_RSRC2:USER_SGPR: 2
; COMPUTE_PGM_RSRC2:TRAP_HANDLER: 0
; COMPUTE_PGM_RSRC2:TGID_X_EN: 1
; COMPUTE_PGM_RSRC2:TGID_Y_EN: 0
; COMPUTE_PGM_RSRC2:TGID_Z_EN: 0
; COMPUTE_PGM_RSRC2:TIDIG_COMP_CNT: 0
	.text
	.protected	batched_transpose_16x32_half ; -- Begin function batched_transpose_16x32_half
	.globl	batched_transpose_16x32_half
	.p2align	8
	.type	batched_transpose_16x32_half,@function
batched_transpose_16x32_half:           ; @batched_transpose_16x32_half
; %bb.0:
	s_load_b256 s[4:11], s[0:1], 0x10
	s_bfe_u32 s2, ttmp6, 0x4000c
	s_and_b32 s3, ttmp6, 15
	s_add_co_i32 s2, s2, 1
	s_getreg_b32 s12, hwreg(HW_REG_IB_STS2, 6, 4)
	s_mul_i32 s2, ttmp9, s2
	s_delay_alu instid0(SALU_CYCLE_1)
	s_add_co_i32 s3, s3, s2
	s_cmp_eq_u32 s12, 0
	s_cselect_b32 s2, ttmp9, s3
	s_mov_b32 s3, 0
	s_wait_kmcnt 0x0
	s_cmp_ge_u32 s2, s7
	s_cbranch_scc1 .LBB7_11
; %bb.1:
	s_load_b128 s[12:15], s[0:1], 0x0
	v_dual_lshrrev_b32 v7, 4, v0 :: v_dual_bitop2_b32 v6, 15, v0 bitop3:0x40
	v_mov_b32_e32 v1, 0
	s_wait_xcnt 0x0
	s_add_co_i32 s0, s4, 31
	s_add_co_i32 s22, s5, 15
	v_dual_lshlrev_b32 v0, 1, v6 :: v_dual_lshlrev_b32 v2, 1, v7
	s_lshl_b32 s20, s5, 4
	s_mov_b32 s21, s3
	s_mov_b32 s18, s8
	s_delay_alu instid0(VALU_DEP_1)
	v_mad_u32_u24 v8, v7, 36, v0
	v_mad_u32_u24 v9, v6, 36, v2
	s_lshr_b32 s8, s0, 5
	s_lshl_b64 s[20:21], s[20:21], 1
	s_and_b32 s0, s22, -16
	s_mov_b32 s16, s10
	s_mov_b32 s17, s3
	;; [unrolled: 1-line block ×4, first 2 shown]
	s_wait_kmcnt 0x0
	s_add_nc_u64 s[20:21], s[14:15], s[20:21]
	s_sub_co_i32 s10, 0, s0
	s_lshl_b32 s22, s2, 4
	s_lshl_b32 s23, s6, 4
                                        ; implicit-def: $vgpr10
                                        ; implicit-def: $vgpr11
	s_branch .LBB7_3
.LBB7_2:                                ;   in Loop: Header=BB7_3 Depth=1
	s_wait_xcnt 0x0
	s_or_b32 exec_lo, exec_lo, s0
	s_add_co_i32 s2, s2, s6
	s_add_co_i32 s22, s22, s23
	s_cmp_lt_u32 s2, s7
	s_cbranch_scc0 .LBB7_11
.LBB7_3:                                ; =>This Inner Loop Header: Depth=1
	s_mul_u64 s[24:25], s[16:17], s[2:3]
	s_mov_b32 s27, s3
	s_add_co_i32 s0, s2, s25
	s_delay_alu instid0(SALU_CYCLE_1) | instskip(SKIP_4) | instid1(SALU_CYCLE_1)
	s_lshr_b32 s26, s0, s11
	s_barrier_signal -1
	s_mul_u64 s[24:25], s[26:27], s[18:19]
	s_barrier_wait -1
	s_add_co_i32 s0, s26, s25
	s_lshr_b32 s24, s0, s9
	v_mov_b32_e32 v13, v1
	s_mul_i32 s0, s24, s8
	s_delay_alu instid0(SALU_CYCLE_1) | instskip(SKIP_4) | instid1(VALU_DEP_2)
	s_sub_co_i32 s0, s26, s0
	s_mul_i32 s26, s10, s26
	s_lshl_b32 s25, s0, 5
	v_add3_u32 v12, s26, s22, v6
	v_or_b32_e32 v0, s25, v7
	v_cmp_gt_u32_e32 vcc_lo, s5, v12
	s_delay_alu instid0(VALU_DEP_2) | instskip(SKIP_4) | instid1(VALU_DEP_1)
	v_mad_nc_u64_u32 v[4:5], s24, s4, v[0:1]
	v_cmp_gt_u32_e64 s0, s4, v0
	s_and_b32 s27, s0, vcc_lo
	s_wait_dscnt 0x0
	v_mad_nc_u64_u32 v[2:3], v4, s1, v[12:13]
	v_mad_u32 v3, v5, s1, v3
	s_and_saveexec_b32 s0, s27
	s_cbranch_execz .LBB7_5
; %bb.4:                                ;   in Loop: Header=BB7_3 Depth=1
	s_delay_alu instid0(VALU_DEP_1)
	v_lshl_add_u64 v[4:5], v[2:3], 1, s[14:15]
	global_load_u16 v11, v[4:5], off
.LBB7_5:                                ;   in Loop: Header=BB7_3 Depth=1
	s_wait_xcnt 0x0
	s_or_b32 exec_lo, exec_lo, s0
	v_add_nc_u32_e32 v0, 16, v0
	s_delay_alu instid0(VALU_DEP_1) | instskip(SKIP_1) | instid1(SALU_CYCLE_1)
	v_cmp_gt_u32_e64 s0, s4, v0
	s_and_b32 s27, s0, vcc_lo
	s_and_saveexec_b32 s0, s27
	s_cbranch_execz .LBB7_7
; %bb.6:                                ;   in Loop: Header=BB7_3 Depth=1
	v_lshl_add_u64 v[2:3], v[2:3], 1, s[20:21]
	global_load_u16 v10, v[2:3], off
.LBB7_7:                                ;   in Loop: Header=BB7_3 Depth=1
	s_wait_xcnt 0x0
	s_or_b32 exec_lo, exec_lo, s0
	v_add3_u32 v0, s26, s22, v7
	v_dual_mov_b32 v3, v1 :: v_dual_bitop2_b32 v2, s25, v6 bitop3:0x54
	s_wait_loadcnt 0x0
	ds_store_b16 v8, v11
	ds_store_b16 v8, v10 offset:576
	s_wait_dscnt 0x0
	v_mad_nc_u64_u32 v[4:5], s24, s1, v[0:1]
	s_barrier_signal -1
	s_barrier_wait -1
	v_cmp_gt_u32_e64 s0, s4, v2
	v_cmp_gt_u32_e32 vcc_lo, s5, v0
	s_and_b32 s24, vcc_lo, s0
	v_mad_nc_u64_u32 v[12:13], v4, s4, v[2:3]
	ds_load_u16 v3, v9 offset:576
	v_mad_u32 v13, v5, s4, v13
	s_delay_alu instid0(VALU_DEP_1)
	v_lshl_add_u64 v[4:5], v[12:13], 1, s[12:13]
	s_and_saveexec_b32 s0, s24
	s_cbranch_execz .LBB7_9
; %bb.8:                                ;   in Loop: Header=BB7_3 Depth=1
	ds_load_u16 v0, v9
	s_wait_dscnt 0x0
	global_store_b16 v[4:5], v0, off
.LBB7_9:                                ;   in Loop: Header=BB7_3 Depth=1
	s_wait_xcnt 0x0
	s_or_b32 exec_lo, exec_lo, s0
	v_or_b32_e32 v0, 16, v2
	s_delay_alu instid0(VALU_DEP_1) | instskip(SKIP_1) | instid1(SALU_CYCLE_1)
	v_cmp_gt_u32_e64 s0, s4, v0
	s_and_b32 s24, vcc_lo, s0
	s_and_saveexec_b32 s0, s24
	s_cbranch_execz .LBB7_2
; %bb.10:                               ;   in Loop: Header=BB7_3 Depth=1
	s_wait_dscnt 0x0
	global_store_b16 v[4:5], v3, off offset:32
	s_branch .LBB7_2
.LBB7_11:
	s_endpgm
	.section	.rodata,"a",@progbits
	.p2align	6, 0x0
	.amdhsa_kernel batched_transpose_16x32_half
		.amdhsa_group_segment_fixed_size 1152
		.amdhsa_private_segment_fixed_size 0
		.amdhsa_kernarg_size 48
		.amdhsa_user_sgpr_count 2
		.amdhsa_user_sgpr_dispatch_ptr 0
		.amdhsa_user_sgpr_queue_ptr 0
		.amdhsa_user_sgpr_kernarg_segment_ptr 1
		.amdhsa_user_sgpr_dispatch_id 0
		.amdhsa_user_sgpr_kernarg_preload_length 0
		.amdhsa_user_sgpr_kernarg_preload_offset 0
		.amdhsa_user_sgpr_private_segment_size 0
		.amdhsa_wavefront_size32 1
		.amdhsa_uses_dynamic_stack 0
		.amdhsa_enable_private_segment 0
		.amdhsa_system_sgpr_workgroup_id_x 1
		.amdhsa_system_sgpr_workgroup_id_y 0
		.amdhsa_system_sgpr_workgroup_id_z 0
		.amdhsa_system_sgpr_workgroup_info 0
		.amdhsa_system_vgpr_workitem_id 0
		.amdhsa_next_free_vgpr 14
		.amdhsa_next_free_sgpr 28
		.amdhsa_named_barrier_count 0
		.amdhsa_reserve_vcc 1
		.amdhsa_float_round_mode_32 0
		.amdhsa_float_round_mode_16_64 0
		.amdhsa_float_denorm_mode_32 3
		.amdhsa_float_denorm_mode_16_64 3
		.amdhsa_fp16_overflow 0
		.amdhsa_memory_ordered 1
		.amdhsa_forward_progress 1
		.amdhsa_inst_pref_size 6
		.amdhsa_round_robin_scheduling 0
		.amdhsa_exception_fp_ieee_invalid_op 0
		.amdhsa_exception_fp_denorm_src 0
		.amdhsa_exception_fp_ieee_div_zero 0
		.amdhsa_exception_fp_ieee_overflow 0
		.amdhsa_exception_fp_ieee_underflow 0
		.amdhsa_exception_fp_ieee_inexact 0
		.amdhsa_exception_int_div_zero 0
	.end_amdhsa_kernel
	.text
.Lfunc_end7:
	.size	batched_transpose_16x32_half, .Lfunc_end7-batched_transpose_16x32_half
                                        ; -- End function
	.set batched_transpose_16x32_half.num_vgpr, 14
	.set batched_transpose_16x32_half.num_agpr, 0
	.set batched_transpose_16x32_half.numbered_sgpr, 28
	.set batched_transpose_16x32_half.num_named_barrier, 0
	.set batched_transpose_16x32_half.private_seg_size, 0
	.set batched_transpose_16x32_half.uses_vcc, 1
	.set batched_transpose_16x32_half.uses_flat_scratch, 0
	.set batched_transpose_16x32_half.has_dyn_sized_stack, 0
	.set batched_transpose_16x32_half.has_recursion, 0
	.set batched_transpose_16x32_half.has_indirect_call, 0
	.section	.AMDGPU.csdata,"",@progbits
; Kernel info:
; codeLenInByte = 644
; TotalNumSgprs: 30
; NumVgprs: 14
; ScratchSize: 0
; MemoryBound: 0
; FloatMode: 240
; IeeeMode: 1
; LDSByteSize: 1152 bytes/workgroup (compile time only)
; SGPRBlocks: 0
; VGPRBlocks: 0
; NumSGPRsForWavesPerEU: 30
; NumVGPRsForWavesPerEU: 14
; NamedBarCnt: 0
; Occupancy: 16
; WaveLimiterHint : 0
; COMPUTE_PGM_RSRC2:SCRATCH_EN: 0
; COMPUTE_PGM_RSRC2:USER_SGPR: 2
; COMPUTE_PGM_RSRC2:TRAP_HANDLER: 0
; COMPUTE_PGM_RSRC2:TGID_X_EN: 1
; COMPUTE_PGM_RSRC2:TGID_Y_EN: 0
; COMPUTE_PGM_RSRC2:TGID_Z_EN: 0
; COMPUTE_PGM_RSRC2:TIDIG_COMP_CNT: 0
	.text
	.protected	batched_transpose_16x32_byte ; -- Begin function batched_transpose_16x32_byte
	.globl	batched_transpose_16x32_byte
	.p2align	8
	.type	batched_transpose_16x32_byte,@function
batched_transpose_16x32_byte:           ; @batched_transpose_16x32_byte
; %bb.0:
	s_load_b256 s[4:11], s[0:1], 0x10
	s_bfe_u32 s2, ttmp6, 0x4000c
	s_and_b32 s3, ttmp6, 15
	s_add_co_i32 s2, s2, 1
	s_getreg_b32 s12, hwreg(HW_REG_IB_STS2, 6, 4)
	s_mul_i32 s2, ttmp9, s2
	s_delay_alu instid0(SALU_CYCLE_1)
	s_add_co_i32 s3, s3, s2
	s_cmp_eq_u32 s12, 0
	s_cselect_b32 s2, ttmp9, s3
	s_mov_b32 s3, 0
	s_wait_kmcnt 0x0
	s_cmp_ge_u32 s2, s7
	s_cbranch_scc1 .LBB8_11
; %bb.1:
	s_load_b128 s[12:15], s[0:1], 0x0
	v_dual_lshrrev_b32 v7, 4, v0 :: v_dual_bitop2_b32 v6, 15, v0 bitop3:0x40
	s_add_co_i32 s22, s5, 15
	s_wait_xcnt 0x0
	s_add_co_i32 s0, s4, 31
	s_mov_b32 s16, s10
	v_mul_u32_u24_e32 v2, 20, v6
	v_mul_u32_u24_e32 v0, 20, v7
	v_mov_b32_e32 v1, 0
	s_lshl_b32 s20, s5, 4
	s_mov_b32 s21, s3
	s_delay_alu instid0(VALU_DEP_2)
	v_dual_add_nc_u32 v9, v2, v7 :: v_dual_add_nc_u32 v8, v0, v6
	s_and_b32 s10, s22, -16
	s_mov_b32 s17, s3
	s_mov_b32 s18, s8
	;; [unrolled: 1-line block ×4, first 2 shown]
	s_lshr_b32 s8, s0, 5
	s_sub_co_i32 s10, 0, s10
	s_wait_kmcnt 0x0
	s_add_nc_u64 s[20:21], s[14:15], s[20:21]
	s_lshl_b32 s22, s2, 4
	s_lshl_b32 s23, s6, 4
                                        ; implicit-def: $vgpr10
                                        ; implicit-def: $vgpr11
	s_branch .LBB8_3
.LBB8_2:                                ;   in Loop: Header=BB8_3 Depth=1
	s_wait_xcnt 0x0
	s_or_b32 exec_lo, exec_lo, s0
	s_add_co_i32 s2, s2, s6
	s_add_co_i32 s22, s22, s23
	s_cmp_lt_u32 s2, s7
	s_cbranch_scc0 .LBB8_11
.LBB8_3:                                ; =>This Inner Loop Header: Depth=1
	s_mul_u64 s[24:25], s[16:17], s[2:3]
	s_mov_b32 s27, s3
	s_add_co_i32 s0, s2, s25
	s_delay_alu instid0(SALU_CYCLE_1) | instskip(SKIP_4) | instid1(SALU_CYCLE_1)
	s_lshr_b32 s26, s0, s11
	s_barrier_signal -1
	s_mul_u64 s[24:25], s[26:27], s[18:19]
	s_barrier_wait -1
	s_add_co_i32 s0, s26, s25
	s_lshr_b32 s24, s0, s9
	v_mov_b32_e32 v13, v1
	s_mul_i32 s0, s24, s8
	s_delay_alu instid0(SALU_CYCLE_1) | instskip(SKIP_4) | instid1(VALU_DEP_2)
	s_sub_co_i32 s0, s26, s0
	s_mul_i32 s26, s10, s26
	s_lshl_b32 s25, s0, 5
	v_add3_u32 v12, s26, s22, v6
	v_or_b32_e32 v0, s25, v7
	v_cmp_gt_u32_e32 vcc_lo, s5, v12
	s_delay_alu instid0(VALU_DEP_2) | instskip(SKIP_4) | instid1(VALU_DEP_1)
	v_mad_nc_u64_u32 v[4:5], s24, s4, v[0:1]
	v_cmp_gt_u32_e64 s0, s4, v0
	s_and_b32 s27, s0, vcc_lo
	s_wait_dscnt 0x0
	v_mad_nc_u64_u32 v[2:3], v4, s1, v[12:13]
	v_mad_u32 v3, v5, s1, v3
	s_and_saveexec_b32 s0, s27
	s_cbranch_execz .LBB8_5
; %bb.4:                                ;   in Loop: Header=BB8_3 Depth=1
	s_delay_alu instid0(VALU_DEP_1)
	v_add_nc_u64_e32 v[4:5], s[14:15], v[2:3]
	global_load_u8 v11, v[4:5], off
.LBB8_5:                                ;   in Loop: Header=BB8_3 Depth=1
	s_wait_xcnt 0x0
	s_or_b32 exec_lo, exec_lo, s0
	v_add_nc_u32_e32 v0, 16, v0
	s_delay_alu instid0(VALU_DEP_1) | instskip(SKIP_1) | instid1(SALU_CYCLE_1)
	v_cmp_gt_u32_e64 s0, s4, v0
	s_and_b32 s27, s0, vcc_lo
	s_and_saveexec_b32 s0, s27
	s_cbranch_execz .LBB8_7
; %bb.6:                                ;   in Loop: Header=BB8_3 Depth=1
	v_add_nc_u64_e32 v[2:3], s[20:21], v[2:3]
	global_load_u8 v10, v[2:3], off
.LBB8_7:                                ;   in Loop: Header=BB8_3 Depth=1
	s_wait_xcnt 0x0
	s_or_b32 exec_lo, exec_lo, s0
	v_add3_u32 v0, s26, s22, v7
	v_dual_mov_b32 v3, v1 :: v_dual_bitop2_b32 v2, s25, v6 bitop3:0x54
	s_wait_loadcnt 0x0
	ds_store_b8 v8, v11
	ds_store_b8 v8, v10 offset:320
	s_wait_dscnt 0x0
	v_mad_nc_u64_u32 v[4:5], s24, s1, v[0:1]
	s_barrier_signal -1
	s_barrier_wait -1
	v_cmp_gt_u32_e64 s0, s4, v2
	v_cmp_gt_u32_e32 vcc_lo, s5, v0
	s_and_b32 s24, vcc_lo, s0
	v_mad_nc_u64_u32 v[12:13], v4, s4, v[2:3]
	ds_load_u8 v3, v9 offset:320
	v_mad_u32 v13, v5, s4, v13
	s_delay_alu instid0(VALU_DEP_1)
	v_add_nc_u64_e32 v[4:5], s[12:13], v[12:13]
	s_and_saveexec_b32 s0, s24
	s_cbranch_execz .LBB8_9
; %bb.8:                                ;   in Loop: Header=BB8_3 Depth=1
	ds_load_u8 v0, v9
	s_wait_dscnt 0x0
	global_store_b8 v[4:5], v0, off
.LBB8_9:                                ;   in Loop: Header=BB8_3 Depth=1
	s_wait_xcnt 0x0
	s_or_b32 exec_lo, exec_lo, s0
	v_or_b32_e32 v0, 16, v2
	s_delay_alu instid0(VALU_DEP_1) | instskip(SKIP_1) | instid1(SALU_CYCLE_1)
	v_cmp_gt_u32_e64 s0, s4, v0
	s_and_b32 s24, vcc_lo, s0
	s_and_saveexec_b32 s0, s24
	s_cbranch_execz .LBB8_2
; %bb.10:                               ;   in Loop: Header=BB8_3 Depth=1
	s_wait_dscnt 0x0
	global_store_b8 v[4:5], v3, off offset:16
	s_branch .LBB8_2
.LBB8_11:
	s_endpgm
	.section	.rodata,"a",@progbits
	.p2align	6, 0x0
	.amdhsa_kernel batched_transpose_16x32_byte
		.amdhsa_group_segment_fixed_size 640
		.amdhsa_private_segment_fixed_size 0
		.amdhsa_kernarg_size 48
		.amdhsa_user_sgpr_count 2
		.amdhsa_user_sgpr_dispatch_ptr 0
		.amdhsa_user_sgpr_queue_ptr 0
		.amdhsa_user_sgpr_kernarg_segment_ptr 1
		.amdhsa_user_sgpr_dispatch_id 0
		.amdhsa_user_sgpr_kernarg_preload_length 0
		.amdhsa_user_sgpr_kernarg_preload_offset 0
		.amdhsa_user_sgpr_private_segment_size 0
		.amdhsa_wavefront_size32 1
		.amdhsa_uses_dynamic_stack 0
		.amdhsa_enable_private_segment 0
		.amdhsa_system_sgpr_workgroup_id_x 1
		.amdhsa_system_sgpr_workgroup_id_y 0
		.amdhsa_system_sgpr_workgroup_id_z 0
		.amdhsa_system_sgpr_workgroup_info 0
		.amdhsa_system_vgpr_workitem_id 0
		.amdhsa_next_free_vgpr 14
		.amdhsa_next_free_sgpr 28
		.amdhsa_named_barrier_count 0
		.amdhsa_reserve_vcc 1
		.amdhsa_float_round_mode_32 0
		.amdhsa_float_round_mode_16_64 0
		.amdhsa_float_denorm_mode_32 3
		.amdhsa_float_denorm_mode_16_64 3
		.amdhsa_fp16_overflow 0
		.amdhsa_memory_ordered 1
		.amdhsa_forward_progress 1
		.amdhsa_inst_pref_size 5
		.amdhsa_round_robin_scheduling 0
		.amdhsa_exception_fp_ieee_invalid_op 0
		.amdhsa_exception_fp_denorm_src 0
		.amdhsa_exception_fp_ieee_div_zero 0
		.amdhsa_exception_fp_ieee_overflow 0
		.amdhsa_exception_fp_ieee_underflow 0
		.amdhsa_exception_fp_ieee_inexact 0
		.amdhsa_exception_int_div_zero 0
	.end_amdhsa_kernel
	.text
.Lfunc_end8:
	.size	batched_transpose_16x32_byte, .Lfunc_end8-batched_transpose_16x32_byte
                                        ; -- End function
	.set batched_transpose_16x32_byte.num_vgpr, 14
	.set batched_transpose_16x32_byte.num_agpr, 0
	.set batched_transpose_16x32_byte.numbered_sgpr, 28
	.set batched_transpose_16x32_byte.num_named_barrier, 0
	.set batched_transpose_16x32_byte.private_seg_size, 0
	.set batched_transpose_16x32_byte.uses_vcc, 1
	.set batched_transpose_16x32_byte.uses_flat_scratch, 0
	.set batched_transpose_16x32_byte.has_dyn_sized_stack, 0
	.set batched_transpose_16x32_byte.has_recursion, 0
	.set batched_transpose_16x32_byte.has_indirect_call, 0
	.section	.AMDGPU.csdata,"",@progbits
; Kernel info:
; codeLenInByte = 620
; TotalNumSgprs: 30
; NumVgprs: 14
; ScratchSize: 0
; MemoryBound: 0
; FloatMode: 240
; IeeeMode: 1
; LDSByteSize: 640 bytes/workgroup (compile time only)
; SGPRBlocks: 0
; VGPRBlocks: 0
; NumSGPRsForWavesPerEU: 30
; NumVGPRsForWavesPerEU: 14
; NamedBarCnt: 0
; Occupancy: 16
; WaveLimiterHint : 0
; COMPUTE_PGM_RSRC2:SCRATCH_EN: 0
; COMPUTE_PGM_RSRC2:USER_SGPR: 2
; COMPUTE_PGM_RSRC2:TRAP_HANDLER: 0
; COMPUTE_PGM_RSRC2:TGID_X_EN: 1
; COMPUTE_PGM_RSRC2:TGID_Y_EN: 0
; COMPUTE_PGM_RSRC2:TGID_Z_EN: 0
; COMPUTE_PGM_RSRC2:TIDIG_COMP_CNT: 0
	.text
	.protected	batched_transpose_32x32_dword ; -- Begin function batched_transpose_32x32_dword
	.globl	batched_transpose_32x32_dword
	.p2align	8
	.type	batched_transpose_32x32_dword,@function
batched_transpose_32x32_dword:          ; @batched_transpose_32x32_dword
; %bb.0:
	s_load_b256 s[4:11], s[0:1], 0x10
	s_bfe_u32 s2, ttmp6, 0x4000c
	s_and_b32 s3, ttmp6, 15
	s_add_co_i32 s2, s2, 1
	s_getreg_b32 s12, hwreg(HW_REG_IB_STS2, 6, 4)
	s_mul_i32 s2, ttmp9, s2
	s_delay_alu instid0(SALU_CYCLE_1)
	s_add_co_i32 s3, s3, s2
	s_cmp_eq_u32 s12, 0
	s_cselect_b32 s2, ttmp9, s3
	s_mov_b32 s3, 0
	s_wait_kmcnt 0x0
	s_cmp_ge_u32 s2, s7
	s_cbranch_scc1 .LBB9_19
; %bb.1:
	s_load_b128 s[12:15], s[0:1], 0x0
	v_dual_lshrrev_b32 v15, 4, v0 :: v_dual_bitop2_b32 v14, 15, v0 bitop3:0x40
	v_and_b32_e32 v0, 0xf0, v0
	s_add_co_i32 s22, s4, 31
	s_add_co_i32 s24, s5, 31
	s_delay_alu instid0(VALU_DEP_2)
	v_dual_lshlrev_b32 v1, 4, v14 :: v_dual_mov_b32 v5, 0
	s_wait_xcnt 0x0
	s_lshl_b32 s0, s5, 4
	s_mov_b32 s1, s3
	s_lshl_b32 s20, s4, 4
	s_mov_b32 s21, s3
	v_mad_u32_u24 v16, 0x110, v15, v1
	v_mad_u32_u24 v17, 0x110, v14, v0
	s_mov_b32 s16, s10
	s_lshr_b32 s10, s22, 5
	s_lshl_b64 s[0:1], s[0:1], 2
	s_lshl_b64 s[22:23], s[20:21], 2
	s_and_not1_b32 s24, s24, 31
	s_mov_b32 s17, s3
	s_mov_b32 s18, s8
	;; [unrolled: 1-line block ×4, first 2 shown]
	s_wait_kmcnt 0x0
	s_add_nc_u64 s[20:21], s[14:15], s[0:1]
	s_add_nc_u64 s[22:23], s[12:13], s[22:23]
	s_sub_co_i32 s24, 0, s24
	s_lshl_b32 s25, s2, 5
	s_lshl_b32 s26, s6, 5
                                        ; implicit-def: $vgpr3
	s_branch .LBB9_3
.LBB9_2:                                ;   in Loop: Header=BB9_3 Depth=1
	s_wait_xcnt 0x0
	s_or_b32 exec_lo, exec_lo, s0
	s_add_co_i32 s2, s2, s6
	s_add_co_i32 s25, s25, s26
	s_cmp_lt_u32 s2, s7
	s_cbranch_scc0 .LBB9_19
.LBB9_3:                                ; =>This Inner Loop Header: Depth=1
	s_mul_u64 s[0:1], s[16:17], s[2:3]
	s_delay_alu instid0(SALU_CYCLE_1)
	s_add_co_i32 s0, s2, s1
	s_mov_b32 s1, s3
	s_lshr_b32 s0, s0, s11
	s_barrier_signal -1
	s_mul_u64 s[28:29], s[0:1], s[18:19]
	s_barrier_wait -1
	s_add_co_i32 s1, s0, s29
	s_mul_i32 s29, s24, s0
	s_lshr_b32 s27, s1, s9
	s_wait_dscnt 0x1
	v_add3_u32 v8, s29, s25, v14
	s_mul_i32 s1, s27, s10
	s_delay_alu instid0(SALU_CYCLE_1)
	s_sub_co_i32 s1, s0, s1
	v_mov_b32_e32 v9, v5
	s_lshl_b32 s28, s1, 5
	v_cmp_gt_u32_e32 vcc_lo, s5, v8
	v_or_b32_e32 v4, s28, v15
	s_wait_dscnt 0x0
	s_delay_alu instid0(VALU_DEP_1) | instskip(SKIP_3) | instid1(VALU_DEP_1)
	v_mad_nc_u64_u32 v[10:11], s27, s4, v[4:5]
	v_cmp_gt_u32_e64 s1, s4, v4
	s_and_b32 s30, s1, vcc_lo
	v_mad_nc_u64_u32 v[6:7], v10, s8, v[8:9]
	v_mad_u32 v7, v11, s8, v7
	s_delay_alu instid0(VALU_DEP_1)
	v_lshl_add_u64 v[10:11], v[6:7], 2, s[14:15]
	s_and_saveexec_b32 s0, s30
	s_cbranch_execz .LBB9_5
; %bb.4:                                ;   in Loop: Header=BB9_3 Depth=1
	global_load_b32 v0, v[10:11], off
.LBB9_5:                                ;   in Loop: Header=BB9_3 Depth=1
	s_wait_xcnt 0x0
	s_or_b32 exec_lo, exec_lo, s0
	v_add_nc_u32_e32 v8, 16, v8
	s_delay_alu instid0(VALU_DEP_1) | instskip(SKIP_1) | instid1(SALU_CYCLE_1)
	v_cmp_gt_u32_e64 s0, s5, v8
	s_and_b32 s30, s1, s0
	s_and_saveexec_b32 s1, s30
	s_cbranch_execz .LBB9_7
; %bb.6:                                ;   in Loop: Header=BB9_3 Depth=1
	global_load_b32 v2, v[10:11], off offset:64
.LBB9_7:                                ;   in Loop: Header=BB9_3 Depth=1
	s_wait_xcnt 0x0
	s_or_b32 exec_lo, exec_lo, s1
	v_add_nc_u32_e32 v4, 16, v4
	v_lshl_add_u64 v[6:7], v[6:7], 2, s[20:21]
	s_delay_alu instid0(VALU_DEP_2) | instskip(SKIP_1) | instid1(SALU_CYCLE_1)
	v_cmp_gt_u32_e64 s1, s4, v4
	s_and_b32 s31, s1, vcc_lo
	s_and_saveexec_b32 s30, s31
	s_cbranch_execz .LBB9_9
; %bb.8:                                ;   in Loop: Header=BB9_3 Depth=1
	global_load_b32 v1, v[6:7], off
.LBB9_9:                                ;   in Loop: Header=BB9_3 Depth=1
	s_wait_xcnt 0x0
	s_or_b32 exec_lo, exec_lo, s30
	s_and_b32 s1, s1, s0
	s_delay_alu instid0(SALU_CYCLE_1)
	s_and_saveexec_b32 s0, s1
	s_cbranch_execz .LBB9_11
; %bb.10:                               ;   in Loop: Header=BB9_3 Depth=1
	global_load_b32 v3, v[6:7], off offset:64
.LBB9_11:                               ;   in Loop: Header=BB9_3 Depth=1
	s_wait_xcnt 0x0
	s_or_b32 exec_lo, exec_lo, s0
	v_add3_u32 v4, s29, s25, v15
	v_dual_mov_b32 v11, v5 :: v_dual_bitop2_b32 v10, s28, v14 bitop3:0x54
	s_wait_loadcnt 0x0
	ds_store_b128 v16, v[0:3]
	s_wait_dscnt 0x0
	v_mad_nc_u64_u32 v[12:13], s27, s8, v[4:5]
	s_barrier_signal -1
	s_barrier_wait -1
	v_cmp_gt_u32_e32 vcc_lo, s4, v10
	v_cmp_gt_u32_e64 s1, s5, v4
	s_and_b32 s27, s1, vcc_lo
	v_mad_nc_u64_u32 v[6:7], v12, s4, v[10:11]
	ds_load_2addr_b32 v[8:9], v17 offset0:1 offset1:2
	ds_load_b32 v11, v17 offset:12
	v_mad_u32 v7, v13, s4, v7
	s_delay_alu instid0(VALU_DEP_1)
	v_lshl_add_u64 v[12:13], v[6:7], 2, s[12:13]
	s_and_saveexec_b32 s0, s27
	s_cbranch_execz .LBB9_13
; %bb.12:                               ;   in Loop: Header=BB9_3 Depth=1
	ds_load_b32 v18, v17
	s_wait_dscnt 0x0
	global_store_b32 v[12:13], v18, off
.LBB9_13:                               ;   in Loop: Header=BB9_3 Depth=1
	s_wait_xcnt 0x0
	s_or_b32 exec_lo, exec_lo, s0
	v_or_b32_e32 v10, 16, v10
	s_delay_alu instid0(VALU_DEP_1) | instskip(SKIP_1) | instid1(SALU_CYCLE_1)
	v_cmp_gt_u32_e64 s0, s4, v10
	s_and_b32 s27, s1, s0
	s_and_saveexec_b32 s1, s27
	s_cbranch_execz .LBB9_15
; %bb.14:                               ;   in Loop: Header=BB9_3 Depth=1
	s_wait_dscnt 0x1
	global_store_b32 v[12:13], v8, off offset:64
.LBB9_15:                               ;   in Loop: Header=BB9_3 Depth=1
	s_wait_xcnt 0x0
	s_or_b32 exec_lo, exec_lo, s1
	v_add_nc_u32_e32 v4, 16, v4
	v_lshl_add_u64 v[6:7], v[6:7], 2, s[22:23]
	s_delay_alu instid0(VALU_DEP_2) | instskip(SKIP_1) | instid1(SALU_CYCLE_1)
	v_cmp_gt_u32_e64 s1, s5, v4
	s_and_b32 s28, s1, vcc_lo
	s_and_saveexec_b32 s27, s28
	s_cbranch_execz .LBB9_17
; %bb.16:                               ;   in Loop: Header=BB9_3 Depth=1
	s_wait_dscnt 0x1
	global_store_b32 v[6:7], v9, off
.LBB9_17:                               ;   in Loop: Header=BB9_3 Depth=1
	s_wait_xcnt 0x0
	s_or_b32 exec_lo, exec_lo, s27
	s_and_b32 s1, s1, s0
	s_delay_alu instid0(SALU_CYCLE_1)
	s_and_saveexec_b32 s0, s1
	s_cbranch_execz .LBB9_2
; %bb.18:                               ;   in Loop: Header=BB9_3 Depth=1
	s_wait_dscnt 0x0
	global_store_b32 v[6:7], v11, off offset:64
	s_branch .LBB9_2
.LBB9_19:
	s_endpgm
	.section	.rodata,"a",@progbits
	.p2align	6, 0x0
	.amdhsa_kernel batched_transpose_32x32_dword
		.amdhsa_group_segment_fixed_size 4352
		.amdhsa_private_segment_fixed_size 0
		.amdhsa_kernarg_size 48
		.amdhsa_user_sgpr_count 2
		.amdhsa_user_sgpr_dispatch_ptr 0
		.amdhsa_user_sgpr_queue_ptr 0
		.amdhsa_user_sgpr_kernarg_segment_ptr 1
		.amdhsa_user_sgpr_dispatch_id 0
		.amdhsa_user_sgpr_kernarg_preload_length 0
		.amdhsa_user_sgpr_kernarg_preload_offset 0
		.amdhsa_user_sgpr_private_segment_size 0
		.amdhsa_wavefront_size32 1
		.amdhsa_uses_dynamic_stack 0
		.amdhsa_enable_private_segment 0
		.amdhsa_system_sgpr_workgroup_id_x 1
		.amdhsa_system_sgpr_workgroup_id_y 0
		.amdhsa_system_sgpr_workgroup_id_z 0
		.amdhsa_system_sgpr_workgroup_info 0
		.amdhsa_system_vgpr_workitem_id 0
		.amdhsa_next_free_vgpr 19
		.amdhsa_next_free_sgpr 32
		.amdhsa_named_barrier_count 0
		.amdhsa_reserve_vcc 1
		.amdhsa_float_round_mode_32 0
		.amdhsa_float_round_mode_16_64 0
		.amdhsa_float_denorm_mode_32 3
		.amdhsa_float_denorm_mode_16_64 3
		.amdhsa_fp16_overflow 0
		.amdhsa_memory_ordered 1
		.amdhsa_forward_progress 1
		.amdhsa_inst_pref_size 7
		.amdhsa_round_robin_scheduling 0
		.amdhsa_exception_fp_ieee_invalid_op 0
		.amdhsa_exception_fp_denorm_src 0
		.amdhsa_exception_fp_ieee_div_zero 0
		.amdhsa_exception_fp_ieee_overflow 0
		.amdhsa_exception_fp_ieee_underflow 0
		.amdhsa_exception_fp_ieee_inexact 0
		.amdhsa_exception_int_div_zero 0
	.end_amdhsa_kernel
	.text
.Lfunc_end9:
	.size	batched_transpose_32x32_dword, .Lfunc_end9-batched_transpose_32x32_dword
                                        ; -- End function
	.set batched_transpose_32x32_dword.num_vgpr, 19
	.set batched_transpose_32x32_dword.num_agpr, 0
	.set batched_transpose_32x32_dword.numbered_sgpr, 32
	.set batched_transpose_32x32_dword.num_named_barrier, 0
	.set batched_transpose_32x32_dword.private_seg_size, 0
	.set batched_transpose_32x32_dword.uses_vcc, 1
	.set batched_transpose_32x32_dword.uses_flat_scratch, 0
	.set batched_transpose_32x32_dword.has_dyn_sized_stack, 0
	.set batched_transpose_32x32_dword.has_recursion, 0
	.set batched_transpose_32x32_dword.has_indirect_call, 0
	.section	.AMDGPU.csdata,"",@progbits
; Kernel info:
; codeLenInByte = 860
; TotalNumSgprs: 34
; NumVgprs: 19
; ScratchSize: 0
; MemoryBound: 0
; FloatMode: 240
; IeeeMode: 1
; LDSByteSize: 4352 bytes/workgroup (compile time only)
; SGPRBlocks: 0
; VGPRBlocks: 1
; NumSGPRsForWavesPerEU: 34
; NumVGPRsForWavesPerEU: 19
; NamedBarCnt: 0
; Occupancy: 16
; WaveLimiterHint : 0
; COMPUTE_PGM_RSRC2:SCRATCH_EN: 0
; COMPUTE_PGM_RSRC2:USER_SGPR: 2
; COMPUTE_PGM_RSRC2:TRAP_HANDLER: 0
; COMPUTE_PGM_RSRC2:TGID_X_EN: 1
; COMPUTE_PGM_RSRC2:TGID_Y_EN: 0
; COMPUTE_PGM_RSRC2:TGID_Z_EN: 0
; COMPUTE_PGM_RSRC2:TIDIG_COMP_CNT: 0
	.text
	.protected	batched_transpose_32x32_half ; -- Begin function batched_transpose_32x32_half
	.globl	batched_transpose_32x32_half
	.p2align	8
	.type	batched_transpose_32x32_half,@function
batched_transpose_32x32_half:           ; @batched_transpose_32x32_half
; %bb.0:
	s_load_b256 s[4:11], s[0:1], 0x10
	s_bfe_u32 s2, ttmp6, 0x4000c
	s_and_b32 s3, ttmp6, 15
	s_add_co_i32 s2, s2, 1
	s_getreg_b32 s12, hwreg(HW_REG_IB_STS2, 6, 4)
	s_mul_i32 s2, ttmp9, s2
	s_delay_alu instid0(SALU_CYCLE_1)
	s_add_co_i32 s3, s3, s2
	s_cmp_eq_u32 s12, 0
	s_cselect_b32 s2, ttmp9, s3
	s_mov_b32 s3, 0
	s_wait_kmcnt 0x0
	s_cmp_ge_u32 s2, s7
	s_cbranch_scc1 .LBB10_19
; %bb.1:
	s_load_b128 s[12:15], s[0:1], 0x0
	v_dual_lshrrev_b32 v9, 4, v0 :: v_dual_bitop2_b32 v8, 15, v0 bitop3:0x40
	s_add_co_i32 s22, s4, 31
	s_add_co_i32 s24, s5, 31
	s_wait_xcnt 0x0
	s_lshl_b32 s0, s5, 4
	v_dual_lshlrev_b32 v0, 3, v8 :: v_dual_lshlrev_b32 v1, 3, v9
	s_mov_b32 s1, s3
	s_lshl_b32 s20, s4, 4
	s_mov_b32 s21, s3
	s_delay_alu instid0(VALU_DEP_1)
	v_mad_u32_u24 v10, 0x88, v9, v0
	v_mad_u32_u24 v11, 0x88, v8, v1
	v_mov_b32_e32 v1, 0
	s_mov_b32 s16, s10
	s_lshr_b32 s10, s22, 5
	s_lshl_b64 s[0:1], s[0:1], 1
	s_lshl_b64 s[22:23], s[20:21], 1
	s_and_not1_b32 s24, s24, 31
	s_mov_b32 s17, s3
	s_mov_b32 s18, s8
	;; [unrolled: 1-line block ×4, first 2 shown]
	s_wait_kmcnt 0x0
	s_add_nc_u64 s[20:21], s[14:15], s[0:1]
	s_add_nc_u64 s[22:23], s[12:13], s[22:23]
	s_sub_co_i32 s24, 0, s24
	s_lshl_b32 s25, s2, 5
	s_lshl_b32 s26, s6, 5
                                        ; implicit-def: $vgpr12
                                        ; implicit-def: $vgpr13
                                        ; implicit-def: $vgpr14
                                        ; implicit-def: $vgpr15
	s_branch .LBB10_3
.LBB10_2:                               ;   in Loop: Header=BB10_3 Depth=1
	s_wait_xcnt 0x0
	s_or_b32 exec_lo, exec_lo, s0
	s_add_co_i32 s2, s2, s6
	s_add_co_i32 s25, s25, s26
	s_cmp_lt_u32 s2, s7
	s_cbranch_scc0 .LBB10_19
.LBB10_3:                               ; =>This Inner Loop Header: Depth=1
	s_mul_u64 s[0:1], s[16:17], s[2:3]
	s_delay_alu instid0(SALU_CYCLE_1)
	s_add_co_i32 s0, s2, s1
	s_mov_b32 s1, s3
	s_lshr_b32 s0, s0, s11
	s_barrier_signal -1
	s_mul_u64 s[28:29], s[0:1], s[18:19]
	s_barrier_wait -1
	s_add_co_i32 s1, s0, s29
	s_mul_i32 s29, s24, s0
	s_lshr_b32 s27, s1, s9
	v_add3_u32 v4, s29, s25, v8
	s_mul_i32 s1, s27, s10
	s_delay_alu instid0(SALU_CYCLE_1)
	s_sub_co_i32 s1, s0, s1
	s_wait_dscnt 0x0
	v_mov_b32_e32 v5, v1
	s_lshl_b32 s28, s1, 5
	v_cmp_gt_u32_e32 vcc_lo, s5, v4
	v_or_b32_e32 v0, s28, v9
	s_delay_alu instid0(VALU_DEP_1) | instskip(SKIP_3) | instid1(VALU_DEP_1)
	v_mad_nc_u64_u32 v[6:7], s27, s4, v[0:1]
	v_cmp_gt_u32_e64 s1, s4, v0
	s_and_b32 s30, s1, vcc_lo
	v_mad_nc_u64_u32 v[2:3], v6, s8, v[4:5]
	v_mad_u32 v3, v7, s8, v3
	s_delay_alu instid0(VALU_DEP_1)
	v_lshl_add_u64 v[6:7], v[2:3], 1, s[14:15]
	s_and_saveexec_b32 s0, s30
	s_cbranch_execz .LBB10_5
; %bb.4:                                ;   in Loop: Header=BB10_3 Depth=1
	global_load_u16 v15, v[6:7], off
.LBB10_5:                               ;   in Loop: Header=BB10_3 Depth=1
	s_wait_xcnt 0x0
	s_or_b32 exec_lo, exec_lo, s0
	v_add_nc_u32_e32 v4, 16, v4
	s_delay_alu instid0(VALU_DEP_1) | instskip(SKIP_1) | instid1(SALU_CYCLE_1)
	v_cmp_gt_u32_e64 s0, s5, v4
	s_and_b32 s30, s1, s0
	s_and_saveexec_b32 s1, s30
	s_cbranch_execz .LBB10_7
; %bb.6:                                ;   in Loop: Header=BB10_3 Depth=1
	global_load_u16 v13, v[6:7], off offset:32
.LBB10_7:                               ;   in Loop: Header=BB10_3 Depth=1
	s_wait_xcnt 0x0
	s_or_b32 exec_lo, exec_lo, s1
	v_add_nc_u32_e32 v0, 16, v0
	v_lshl_add_u64 v[2:3], v[2:3], 1, s[20:21]
	s_delay_alu instid0(VALU_DEP_2) | instskip(SKIP_1) | instid1(SALU_CYCLE_1)
	v_cmp_gt_u32_e64 s1, s4, v0
	s_and_b32 s31, s1, vcc_lo
	s_and_saveexec_b32 s30, s31
	s_cbranch_execz .LBB10_9
; %bb.8:                                ;   in Loop: Header=BB10_3 Depth=1
	global_load_u16 v14, v[2:3], off
.LBB10_9:                               ;   in Loop: Header=BB10_3 Depth=1
	s_wait_xcnt 0x0
	s_or_b32 exec_lo, exec_lo, s30
	s_and_b32 s1, s1, s0
	s_delay_alu instid0(SALU_CYCLE_1)
	s_and_saveexec_b32 s0, s1
	s_cbranch_execz .LBB10_11
; %bb.10:                               ;   in Loop: Header=BB10_3 Depth=1
	global_load_u16 v12, v[2:3], off offset:32
.LBB10_11:                              ;   in Loop: Header=BB10_3 Depth=1
	s_wait_xcnt 0x0
	s_or_b32 exec_lo, exec_lo, s0
	v_add3_u32 v0, s29, s25, v9
	v_dual_mov_b32 v5, v1 :: v_dual_bitop2_b32 v4, s28, v8 bitop3:0x54
	s_wait_loadcnt 0x0
	v_perm_b32 v17, v12, v13, 0x5040100
	v_perm_b32 v16, v14, v15, 0x5040100
	v_mad_nc_u64_u32 v[6:7], s27, s8, v[0:1]
	v_cmp_gt_u32_e32 vcc_lo, s4, v4
	v_cmp_gt_u32_e64 s1, s5, v0
	ds_store_b64 v10, v[16:17]
	s_wait_dscnt 0x0
	s_barrier_signal -1
	s_barrier_wait -1
	s_and_b32 s27, s1, vcc_lo
	v_mad_nc_u64_u32 v[2:3], v6, s4, v[4:5]
	ds_load_u16 v16, v11 offset:2
	ds_load_b32 v5, v11 offset:4
	v_mad_u32 v3, v7, s4, v3
	s_delay_alu instid0(VALU_DEP_1)
	v_lshl_add_u64 v[6:7], v[2:3], 1, s[12:13]
	s_and_saveexec_b32 s0, s27
	s_cbranch_execz .LBB10_13
; %bb.12:                               ;   in Loop: Header=BB10_3 Depth=1
	ds_load_u16 v17, v11
	s_wait_dscnt 0x0
	global_store_b16 v[6:7], v17, off
.LBB10_13:                              ;   in Loop: Header=BB10_3 Depth=1
	s_wait_xcnt 0x0
	s_or_b32 exec_lo, exec_lo, s0
	v_or_b32_e32 v4, 16, v4
	s_delay_alu instid0(VALU_DEP_1) | instskip(SKIP_1) | instid1(SALU_CYCLE_1)
	v_cmp_gt_u32_e64 s0, s4, v4
	s_and_b32 s27, s1, s0
	s_and_saveexec_b32 s1, s27
	s_cbranch_execz .LBB10_15
; %bb.14:                               ;   in Loop: Header=BB10_3 Depth=1
	s_wait_dscnt 0x1
	global_store_b16 v[6:7], v16, off offset:32
.LBB10_15:                              ;   in Loop: Header=BB10_3 Depth=1
	s_wait_xcnt 0x0
	s_or_b32 exec_lo, exec_lo, s1
	v_add_nc_u32_e32 v0, 16, v0
	v_lshl_add_u64 v[2:3], v[2:3], 1, s[22:23]
	s_delay_alu instid0(VALU_DEP_2) | instskip(SKIP_1) | instid1(SALU_CYCLE_1)
	v_cmp_gt_u32_e64 s1, s5, v0
	s_and_b32 s28, s1, vcc_lo
	s_and_saveexec_b32 s27, s28
	s_cbranch_execz .LBB10_17
; %bb.16:                               ;   in Loop: Header=BB10_3 Depth=1
	s_wait_dscnt 0x0
	global_store_b16 v[2:3], v5, off
.LBB10_17:                              ;   in Loop: Header=BB10_3 Depth=1
	s_wait_xcnt 0x0
	s_or_b32 exec_lo, exec_lo, s27
	s_and_b32 s1, s1, s0
	s_delay_alu instid0(SALU_CYCLE_1)
	s_and_saveexec_b32 s0, s1
	s_cbranch_execz .LBB10_2
; %bb.18:                               ;   in Loop: Header=BB10_3 Depth=1
	s_wait_dscnt 0x0
	global_store_d16_hi_b16 v[2:3], v5, off offset:32
	s_branch .LBB10_2
.LBB10_19:
	s_endpgm
	.section	.rodata,"a",@progbits
	.p2align	6, 0x0
	.amdhsa_kernel batched_transpose_32x32_half
		.amdhsa_group_segment_fixed_size 2176
		.amdhsa_private_segment_fixed_size 0
		.amdhsa_kernarg_size 48
		.amdhsa_user_sgpr_count 2
		.amdhsa_user_sgpr_dispatch_ptr 0
		.amdhsa_user_sgpr_queue_ptr 0
		.amdhsa_user_sgpr_kernarg_segment_ptr 1
		.amdhsa_user_sgpr_dispatch_id 0
		.amdhsa_user_sgpr_kernarg_preload_length 0
		.amdhsa_user_sgpr_kernarg_preload_offset 0
		.amdhsa_user_sgpr_private_segment_size 0
		.amdhsa_wavefront_size32 1
		.amdhsa_uses_dynamic_stack 0
		.amdhsa_enable_private_segment 0
		.amdhsa_system_sgpr_workgroup_id_x 1
		.amdhsa_system_sgpr_workgroup_id_y 0
		.amdhsa_system_sgpr_workgroup_id_z 0
		.amdhsa_system_sgpr_workgroup_info 0
		.amdhsa_system_vgpr_workitem_id 0
		.amdhsa_next_free_vgpr 18
		.amdhsa_next_free_sgpr 32
		.amdhsa_named_barrier_count 0
		.amdhsa_reserve_vcc 1
		.amdhsa_float_round_mode_32 0
		.amdhsa_float_round_mode_16_64 0
		.amdhsa_float_denorm_mode_32 3
		.amdhsa_float_denorm_mode_16_64 3
		.amdhsa_fp16_overflow 0
		.amdhsa_memory_ordered 1
		.amdhsa_forward_progress 1
		.amdhsa_inst_pref_size 7
		.amdhsa_round_robin_scheduling 0
		.amdhsa_exception_fp_ieee_invalid_op 0
		.amdhsa_exception_fp_denorm_src 0
		.amdhsa_exception_fp_ieee_div_zero 0
		.amdhsa_exception_fp_ieee_overflow 0
		.amdhsa_exception_fp_ieee_underflow 0
		.amdhsa_exception_fp_ieee_inexact 0
		.amdhsa_exception_int_div_zero 0
	.end_amdhsa_kernel
	.text
.Lfunc_end10:
	.size	batched_transpose_32x32_half, .Lfunc_end10-batched_transpose_32x32_half
                                        ; -- End function
	.set batched_transpose_32x32_half.num_vgpr, 18
	.set batched_transpose_32x32_half.num_agpr, 0
	.set batched_transpose_32x32_half.numbered_sgpr, 32
	.set batched_transpose_32x32_half.num_named_barrier, 0
	.set batched_transpose_32x32_half.private_seg_size, 0
	.set batched_transpose_32x32_half.uses_vcc, 1
	.set batched_transpose_32x32_half.uses_flat_scratch, 0
	.set batched_transpose_32x32_half.has_dyn_sized_stack, 0
	.set batched_transpose_32x32_half.has_recursion, 0
	.set batched_transpose_32x32_half.has_indirect_call, 0
	.section	.AMDGPU.csdata,"",@progbits
; Kernel info:
; codeLenInByte = 876
; TotalNumSgprs: 34
; NumVgprs: 18
; ScratchSize: 0
; MemoryBound: 0
; FloatMode: 240
; IeeeMode: 1
; LDSByteSize: 2176 bytes/workgroup (compile time only)
; SGPRBlocks: 0
; VGPRBlocks: 1
; NumSGPRsForWavesPerEU: 34
; NumVGPRsForWavesPerEU: 18
; NamedBarCnt: 0
; Occupancy: 16
; WaveLimiterHint : 0
; COMPUTE_PGM_RSRC2:SCRATCH_EN: 0
; COMPUTE_PGM_RSRC2:USER_SGPR: 2
; COMPUTE_PGM_RSRC2:TRAP_HANDLER: 0
; COMPUTE_PGM_RSRC2:TGID_X_EN: 1
; COMPUTE_PGM_RSRC2:TGID_Y_EN: 0
; COMPUTE_PGM_RSRC2:TGID_Z_EN: 0
; COMPUTE_PGM_RSRC2:TIDIG_COMP_CNT: 0
	.text
	.protected	batched_transpose_32x32_byte ; -- Begin function batched_transpose_32x32_byte
	.globl	batched_transpose_32x32_byte
	.p2align	8
	.type	batched_transpose_32x32_byte,@function
batched_transpose_32x32_byte:           ; @batched_transpose_32x32_byte
; %bb.0:
	s_load_b256 s[4:11], s[0:1], 0x10
	s_bfe_u32 s2, ttmp6, 0x4000c
	s_and_b32 s3, ttmp6, 15
	s_add_co_i32 s2, s2, 1
	s_getreg_b32 s12, hwreg(HW_REG_IB_STS2, 6, 4)
	s_mul_i32 s2, ttmp9, s2
	s_delay_alu instid0(SALU_CYCLE_1)
	s_add_co_i32 s3, s3, s2
	s_cmp_eq_u32 s12, 0
	s_cselect_b32 s2, ttmp9, s3
	s_mov_b32 s3, 0
	s_wait_kmcnt 0x0
	s_cmp_ge_u32 s2, s7
	s_cbranch_scc1 .LBB11_19
; %bb.1:
	s_load_b128 s[12:15], s[0:1], 0x0
	v_dual_lshrrev_b32 v9, 4, v0 :: v_dual_bitop2_b32 v8, 15, v0 bitop3:0x40
	s_add_co_i32 s24, s5, 31
	s_add_co_i32 s20, s4, 31
	s_wait_xcnt 0x0
	s_lshl_b32 s0, s5, 4
	v_dual_lshlrev_b32 v0, 2, v8 :: v_dual_lshlrev_b32 v1, 2, v9
	s_mov_b32 s1, s3
	s_lshl_b32 s22, s4, 4
	s_mov_b32 s23, s3
	s_delay_alu instid0(VALU_DEP_1)
	v_mad_u32_u24 v10, 0x44, v9, v0
	v_mad_u32_u24 v11, 0x44, v8, v1
	v_mov_b32_e32 v1, 0
	s_and_not1_b32 s24, s24, 31
	s_mov_b32 s16, s10
	s_mov_b32 s17, s3
	s_mov_b32 s18, s8
	s_mov_b32 s19, s3
	s_mov_b32 s8, s5
	s_lshr_b32 s10, s20, 5
	s_wait_kmcnt 0x0
	s_add_nc_u64 s[20:21], s[14:15], s[0:1]
	s_add_nc_u64 s[22:23], s[12:13], s[22:23]
	s_sub_co_i32 s24, 0, s24
	s_lshl_b32 s25, s2, 5
	s_lshl_b32 s26, s6, 5
                                        ; implicit-def: $vgpr12
                                        ; implicit-def: $vgpr13
                                        ; implicit-def: $vgpr14
                                        ; implicit-def: $vgpr15
	s_branch .LBB11_3
.LBB11_2:                               ;   in Loop: Header=BB11_3 Depth=1
	s_wait_xcnt 0x0
	s_or_b32 exec_lo, exec_lo, s0
	s_add_co_i32 s2, s2, s6
	s_add_co_i32 s25, s25, s26
	s_cmp_lt_u32 s2, s7
	s_cbranch_scc0 .LBB11_19
.LBB11_3:                               ; =>This Inner Loop Header: Depth=1
	s_mul_u64 s[0:1], s[16:17], s[2:3]
	s_delay_alu instid0(SALU_CYCLE_1)
	s_add_co_i32 s0, s2, s1
	s_mov_b32 s1, s3
	s_lshr_b32 s0, s0, s11
	s_barrier_signal -1
	s_mul_u64 s[28:29], s[0:1], s[18:19]
	s_barrier_wait -1
	s_add_co_i32 s1, s0, s29
	s_mul_i32 s29, s24, s0
	s_lshr_b32 s27, s1, s9
	v_add3_u32 v4, s29, s25, v8
	s_mul_i32 s1, s27, s10
	s_delay_alu instid0(SALU_CYCLE_1)
	s_sub_co_i32 s1, s0, s1
	s_wait_dscnt 0x0
	v_mov_b32_e32 v5, v1
	s_lshl_b32 s28, s1, 5
	v_cmp_gt_u32_e32 vcc_lo, s5, v4
	v_or_b32_e32 v0, s28, v9
	s_delay_alu instid0(VALU_DEP_1) | instskip(SKIP_3) | instid1(VALU_DEP_1)
	v_mad_nc_u64_u32 v[6:7], s27, s4, v[0:1]
	v_cmp_gt_u32_e64 s1, s4, v0
	s_and_b32 s30, s1, vcc_lo
	v_mad_nc_u64_u32 v[2:3], v6, s8, v[4:5]
	v_mad_u32 v3, v7, s8, v3
	s_delay_alu instid0(VALU_DEP_1)
	v_add_nc_u64_e32 v[6:7], s[14:15], v[2:3]
	s_and_saveexec_b32 s0, s30
	s_cbranch_execz .LBB11_5
; %bb.4:                                ;   in Loop: Header=BB11_3 Depth=1
	global_load_u8 v15, v[6:7], off
.LBB11_5:                               ;   in Loop: Header=BB11_3 Depth=1
	s_wait_xcnt 0x0
	s_or_b32 exec_lo, exec_lo, s0
	v_add_nc_u32_e32 v4, 16, v4
	s_delay_alu instid0(VALU_DEP_1) | instskip(SKIP_1) | instid1(SALU_CYCLE_1)
	v_cmp_gt_u32_e64 s0, s5, v4
	s_and_b32 s30, s1, s0
	s_and_saveexec_b32 s1, s30
	s_cbranch_execz .LBB11_7
; %bb.6:                                ;   in Loop: Header=BB11_3 Depth=1
	global_load_u8 v13, v[6:7], off offset:16
.LBB11_7:                               ;   in Loop: Header=BB11_3 Depth=1
	s_wait_xcnt 0x0
	s_or_b32 exec_lo, exec_lo, s1
	v_add_nc_u32_e32 v0, 16, v0
	v_add_nc_u64_e32 v[2:3], s[20:21], v[2:3]
	s_delay_alu instid0(VALU_DEP_2) | instskip(SKIP_1) | instid1(SALU_CYCLE_1)
	v_cmp_gt_u32_e64 s1, s4, v0
	s_and_b32 s31, s1, vcc_lo
	s_and_saveexec_b32 s30, s31
	s_cbranch_execz .LBB11_9
; %bb.8:                                ;   in Loop: Header=BB11_3 Depth=1
	global_load_u8 v14, v[2:3], off
.LBB11_9:                               ;   in Loop: Header=BB11_3 Depth=1
	s_wait_xcnt 0x0
	s_or_b32 exec_lo, exec_lo, s30
	s_and_b32 s1, s1, s0
	s_delay_alu instid0(SALU_CYCLE_1)
	s_and_saveexec_b32 s0, s1
	s_cbranch_execz .LBB11_11
; %bb.10:                               ;   in Loop: Header=BB11_3 Depth=1
	global_load_u8 v12, v[2:3], off offset:16
.LBB11_11:                              ;   in Loop: Header=BB11_3 Depth=1
	s_wait_xcnt 0x0
	s_or_b32 exec_lo, exec_lo, s0
	v_add3_u32 v0, s29, s25, v9
	s_wait_loadcnt 0x0
	v_perm_b32 v2, v15, v14, 0xc0c0004
	v_perm_b32 v3, v13, v12, 0xc0c0004
	v_dual_mov_b32 v5, v1 :: v_dual_bitop2_b32 v4, s28, v8 bitop3:0x54
	v_mad_nc_u64_u32 v[6:7], s27, s8, v[0:1]
	v_cmp_gt_u32_e64 s1, s5, v0
	s_delay_alu instid0(VALU_DEP_4) | instskip(NEXT) | instid1(VALU_DEP_4)
	v_lshl_or_b32 v16, v3, 16, v2
	v_cmp_gt_u32_e32 vcc_lo, s4, v4
	ds_store_b32 v10, v16
	s_wait_dscnt 0x0
	s_barrier_signal -1
	s_barrier_wait -1
	v_mad_nc_u64_u32 v[2:3], v6, s4, v[4:5]
	ds_load_u8 v16, v11 offset:1
	ds_load_u16 v5, v11 offset:2
	s_and_b32 s27, s1, vcc_lo
	v_mad_u32 v3, v7, s4, v3
	s_delay_alu instid0(VALU_DEP_1)
	v_add_nc_u64_e32 v[6:7], s[12:13], v[2:3]
	s_and_saveexec_b32 s0, s27
	s_cbranch_execz .LBB11_13
; %bb.12:                               ;   in Loop: Header=BB11_3 Depth=1
	ds_load_u8 v17, v11
	s_wait_dscnt 0x0
	global_store_b8 v[6:7], v17, off
.LBB11_13:                              ;   in Loop: Header=BB11_3 Depth=1
	s_wait_xcnt 0x0
	s_or_b32 exec_lo, exec_lo, s0
	v_or_b32_e32 v4, 16, v4
	s_delay_alu instid0(VALU_DEP_1) | instskip(SKIP_1) | instid1(SALU_CYCLE_1)
	v_cmp_gt_u32_e64 s0, s4, v4
	s_and_b32 s27, s1, s0
	s_and_saveexec_b32 s1, s27
	s_cbranch_execz .LBB11_15
; %bb.14:                               ;   in Loop: Header=BB11_3 Depth=1
	s_wait_dscnt 0x1
	global_store_b8 v[6:7], v16, off offset:16
.LBB11_15:                              ;   in Loop: Header=BB11_3 Depth=1
	s_wait_xcnt 0x0
	s_or_b32 exec_lo, exec_lo, s1
	v_add_nc_u32_e32 v0, 16, v0
	v_add_nc_u64_e32 v[2:3], s[22:23], v[2:3]
	s_delay_alu instid0(VALU_DEP_2) | instskip(SKIP_1) | instid1(SALU_CYCLE_1)
	v_cmp_gt_u32_e64 s1, s5, v0
	s_and_b32 s28, s1, vcc_lo
	s_and_saveexec_b32 s27, s28
	s_cbranch_execz .LBB11_17
; %bb.16:                               ;   in Loop: Header=BB11_3 Depth=1
	s_wait_dscnt 0x0
	global_store_b8 v[2:3], v5, off
.LBB11_17:                              ;   in Loop: Header=BB11_3 Depth=1
	s_wait_xcnt 0x0
	s_or_b32 exec_lo, exec_lo, s27
	s_and_b32 s1, s1, s0
	s_delay_alu instid0(SALU_CYCLE_1)
	s_and_saveexec_b32 s0, s1
	s_cbranch_execz .LBB11_2
; %bb.18:                               ;   in Loop: Header=BB11_3 Depth=1
	s_wait_dscnt 0x0
	v_lshrrev_b16 v0, 8, v5
	global_store_b8 v[2:3], v0, off offset:16
	s_branch .LBB11_2
.LBB11_19:
	s_endpgm
	.section	.rodata,"a",@progbits
	.p2align	6, 0x0
	.amdhsa_kernel batched_transpose_32x32_byte
		.amdhsa_group_segment_fixed_size 1088
		.amdhsa_private_segment_fixed_size 0
		.amdhsa_kernarg_size 48
		.amdhsa_user_sgpr_count 2
		.amdhsa_user_sgpr_dispatch_ptr 0
		.amdhsa_user_sgpr_queue_ptr 0
		.amdhsa_user_sgpr_kernarg_segment_ptr 1
		.amdhsa_user_sgpr_dispatch_id 0
		.amdhsa_user_sgpr_kernarg_preload_length 0
		.amdhsa_user_sgpr_kernarg_preload_offset 0
		.amdhsa_user_sgpr_private_segment_size 0
		.amdhsa_wavefront_size32 1
		.amdhsa_uses_dynamic_stack 0
		.amdhsa_enable_private_segment 0
		.amdhsa_system_sgpr_workgroup_id_x 1
		.amdhsa_system_sgpr_workgroup_id_y 0
		.amdhsa_system_sgpr_workgroup_id_z 0
		.amdhsa_system_sgpr_workgroup_info 0
		.amdhsa_system_vgpr_workitem_id 0
		.amdhsa_next_free_vgpr 18
		.amdhsa_next_free_sgpr 32
		.amdhsa_named_barrier_count 0
		.amdhsa_reserve_vcc 1
		.amdhsa_float_round_mode_32 0
		.amdhsa_float_round_mode_16_64 0
		.amdhsa_float_denorm_mode_32 3
		.amdhsa_float_denorm_mode_16_64 3
		.amdhsa_fp16_overflow 0
		.amdhsa_memory_ordered 1
		.amdhsa_forward_progress 1
		.amdhsa_inst_pref_size 7
		.amdhsa_round_robin_scheduling 0
		.amdhsa_exception_fp_ieee_invalid_op 0
		.amdhsa_exception_fp_denorm_src 0
		.amdhsa_exception_fp_ieee_div_zero 0
		.amdhsa_exception_fp_ieee_overflow 0
		.amdhsa_exception_fp_ieee_underflow 0
		.amdhsa_exception_fp_ieee_inexact 0
		.amdhsa_exception_int_div_zero 0
	.end_amdhsa_kernel
	.text
.Lfunc_end11:
	.size	batched_transpose_32x32_byte, .Lfunc_end11-batched_transpose_32x32_byte
                                        ; -- End function
	.set batched_transpose_32x32_byte.num_vgpr, 18
	.set batched_transpose_32x32_byte.num_agpr, 0
	.set batched_transpose_32x32_byte.numbered_sgpr, 32
	.set batched_transpose_32x32_byte.num_named_barrier, 0
	.set batched_transpose_32x32_byte.private_seg_size, 0
	.set batched_transpose_32x32_byte.uses_vcc, 1
	.set batched_transpose_32x32_byte.uses_flat_scratch, 0
	.set batched_transpose_32x32_byte.has_dyn_sized_stack, 0
	.set batched_transpose_32x32_byte.has_recursion, 0
	.set batched_transpose_32x32_byte.has_indirect_call, 0
	.section	.AMDGPU.csdata,"",@progbits
; Kernel info:
; codeLenInByte = 872
; TotalNumSgprs: 34
; NumVgprs: 18
; ScratchSize: 0
; MemoryBound: 0
; FloatMode: 240
; IeeeMode: 1
; LDSByteSize: 1088 bytes/workgroup (compile time only)
; SGPRBlocks: 0
; VGPRBlocks: 1
; NumSGPRsForWavesPerEU: 34
; NumVGPRsForWavesPerEU: 18
; NamedBarCnt: 0
; Occupancy: 16
; WaveLimiterHint : 0
; COMPUTE_PGM_RSRC2:SCRATCH_EN: 0
; COMPUTE_PGM_RSRC2:USER_SGPR: 2
; COMPUTE_PGM_RSRC2:TRAP_HANDLER: 0
; COMPUTE_PGM_RSRC2:TGID_X_EN: 1
; COMPUTE_PGM_RSRC2:TGID_Y_EN: 0
; COMPUTE_PGM_RSRC2:TGID_Z_EN: 0
; COMPUTE_PGM_RSRC2:TIDIG_COMP_CNT: 0
	.text
	.protected	batched_transpose_4x256_dword ; -- Begin function batched_transpose_4x256_dword
	.globl	batched_transpose_4x256_dword
	.p2align	8
	.type	batched_transpose_4x256_dword,@function
batched_transpose_4x256_dword:          ; @batched_transpose_4x256_dword
; %bb.0:
	s_load_b256 s[4:11], s[0:1], 0x10
	s_bfe_u32 s2, ttmp6, 0x4000c
	s_and_b32 s3, ttmp6, 15
	s_add_co_i32 s2, s2, 1
	s_getreg_b32 s12, hwreg(HW_REG_IB_STS2, 6, 4)
	s_mul_i32 s2, ttmp9, s2
	s_mov_b32 s15, 0
	s_add_co_i32 s3, s3, s2
	s_cmp_eq_u32 s12, 0
	s_cselect_b32 s12, ttmp9, s3
	s_wait_kmcnt 0x0
	s_cmp_ge_u32 s12, s7
	s_cbranch_scc1 .LBB12_19
; %bb.1:
	s_load_b128 s[0:3], s[0:1], 0x0
	s_lshl_b32 s14, s4, 1
	s_add_co_i32 s28, s5, 3
	s_mov_b32 s20, s4
	s_mov_b32 s21, s15
	s_lshl_b64 s[26:27], s[14:15], 2
	s_mul_i32 s14, s4, 3
	v_mov_b32_e32 v3, 0
	s_add_co_i32 s13, s4, 0xff
	s_mov_b32 s16, s10
	s_lshl_b64 s[24:25], s[20:21], 2
	s_and_b32 s10, s28, -4
	s_lshl_b64 s[28:29], s[14:15], 2
	s_mov_b32 s17, s15
	s_mov_b32 s18, s8
	;; [unrolled: 1-line block ×5, first 2 shown]
	s_lshr_b32 s8, s13, 8
	s_sub_co_i32 s10, 0, s10
	s_wait_kmcnt 0x0
	s_add_nc_u64 s[24:25], s[0:1], s[24:25]
	s_add_nc_u64 s[26:27], s[0:1], s[26:27]
	;; [unrolled: 1-line block ×3, first 2 shown]
	s_lshl_b32 s21, s12, 2
	s_lshl_b32 s33, s6, 2
                                        ; implicit-def: $vgpr1
                                        ; implicit-def: $vgpr6
                                        ; implicit-def: $vgpr7
                                        ; implicit-def: $vgpr8
	s_branch .LBB12_3
.LBB12_2:                               ;   in Loop: Header=BB12_3 Depth=1
	s_wait_xcnt 0x0
	s_or_b32 exec_lo, exec_lo, s13
	s_add_co_i32 s12, s12, s6
	s_add_co_i32 s21, s21, s33
	s_cmp_lt_u32 s12, s7
	s_cbranch_scc0 .LBB12_19
.LBB12_3:                               ; =>This Inner Loop Header: Depth=1
	s_mov_b32 s13, s15
	s_delay_alu instid0(SALU_CYCLE_1) | instskip(NEXT) | instid1(SALU_CYCLE_1)
	s_mul_u64 s[30:31], s[16:17], s[12:13]
	s_add_co_i32 s13, s12, s31
	s_delay_alu instid0(SALU_CYCLE_1) | instskip(NEXT) | instid1(SALU_CYCLE_1)
	s_lshr_b32 s14, s13, s11
	s_mul_u64 s[30:31], s[14:15], s[18:19]
	s_delay_alu instid0(SALU_CYCLE_1) | instskip(NEXT) | instid1(SALU_CYCLE_1)
	s_add_co_i32 s13, s14, s31
	s_lshr_b32 s30, s13, s9
	s_delay_alu instid0(SALU_CYCLE_1) | instskip(NEXT) | instid1(SALU_CYCLE_1)
	s_mul_i32 s13, s30, s8
	s_sub_co_i32 s13, s14, s13
	s_delay_alu instid0(SALU_CYCLE_1) | instskip(SKIP_1) | instid1(SALU_CYCLE_1)
	v_lshl_or_b32 v2, s13, 8, v0
	s_mul_i32 s13, s10, s14
	s_add_co_i32 s14, s21, s13
	s_delay_alu instid0(SALU_CYCLE_1) | instskip(NEXT) | instid1(VALU_DEP_1)
	s_cmp_lt_u32 s14, s5
	v_mad_nc_u64_u32 v[4:5], s30, s20, v[2:3]
	v_cmp_gt_u32_e32 vcc_lo, s4, v2
	s_cselect_b32 s13, -1, 0
	s_delay_alu instid0(SALU_CYCLE_1) | instskip(NEXT) | instid1(VALU_DEP_2)
	s_and_b32 s13, s13, vcc_lo
	v_mad_nc_u64_u32 v[10:11], v4, s22, s[14:15]
	s_delay_alu instid0(VALU_DEP_1) | instskip(NEXT) | instid1(VALU_DEP_1)
	v_mad_u32 v11, v5, s22, v11
	v_lshl_add_u64 v[4:5], v[10:11], 2, s[2:3]
	s_and_saveexec_b32 s31, s13
	s_cbranch_execz .LBB12_5
; %bb.4:                                ;   in Loop: Header=BB12_3 Depth=1
	s_wait_loadcnt 0x0
	global_load_b32 v8, v[4:5], off
.LBB12_5:                               ;   in Loop: Header=BB12_3 Depth=1
	s_wait_xcnt 0x0
	s_or_b32 exec_lo, exec_lo, s31
	s_add_co_i32 s31, s14, 1
	s_delay_alu instid0(SALU_CYCLE_1) | instskip(SKIP_1) | instid1(SALU_CYCLE_1)
	s_cmp_lt_u32 s31, s5
	s_cselect_b32 s31, -1, 0
	s_and_b32 s34, vcc_lo, s31
	s_delay_alu instid0(SALU_CYCLE_1)
	s_and_saveexec_b32 s31, s34
	s_cbranch_execz .LBB12_7
; %bb.6:                                ;   in Loop: Header=BB12_3 Depth=1
	s_wait_loadcnt 0x0
	global_load_b32 v7, v[4:5], off offset:4
.LBB12_7:                               ;   in Loop: Header=BB12_3 Depth=1
	s_wait_xcnt 0x0
	s_or_b32 exec_lo, exec_lo, s31
	s_add_co_i32 s31, s14, 2
	s_delay_alu instid0(SALU_CYCLE_1) | instskip(SKIP_1) | instid1(SALU_CYCLE_1)
	s_cmp_lt_u32 s31, s5
	s_cselect_b32 s31, -1, 0
	s_and_b32 s35, vcc_lo, s31
	s_delay_alu instid0(SALU_CYCLE_1)
	s_and_saveexec_b32 s31, s35
	s_cbranch_execz .LBB12_9
; %bb.8:                                ;   in Loop: Header=BB12_3 Depth=1
	s_wait_loadcnt 0x0
	global_load_b32 v6, v[4:5], off offset:8
.LBB12_9:                               ;   in Loop: Header=BB12_3 Depth=1
	s_wait_xcnt 0x0
	s_or_b32 exec_lo, exec_lo, s31
	s_add_co_i32 s31, s14, 3
	s_delay_alu instid0(SALU_CYCLE_1) | instskip(SKIP_1) | instid1(SALU_CYCLE_1)
	s_cmp_lt_u32 s31, s5
	s_cselect_b32 s31, -1, 0
	s_and_b32 s36, vcc_lo, s31
	s_delay_alu instid0(SALU_CYCLE_1)
	s_and_saveexec_b32 s31, s36
	s_cbranch_execz .LBB12_11
; %bb.10:                               ;   in Loop: Header=BB12_3 Depth=1
	s_wait_loadcnt 0x0
	global_load_b32 v1, v[4:5], off offset:12
.LBB12_11:                              ;   in Loop: Header=BB12_3 Depth=1
	s_wait_xcnt 0x0
	s_or_b32 exec_lo, exec_lo, s31
	s_mov_b32 s31, s15
	s_delay_alu instid0(SALU_CYCLE_1) | instskip(NEXT) | instid1(SALU_CYCLE_1)
	s_mul_u64 s[30:31], s[30:31], s[22:23]
	s_add_nc_u64 s[30:31], s[30:31], s[14:15]
	s_delay_alu instid0(SALU_CYCLE_1) | instskip(NEXT) | instid1(VALU_DEP_1)
	v_mad_nc_u64_u32 v[4:5], s30, s20, v[2:3]
	v_mad_u32 v5, s31, s20, v5
	s_and_saveexec_b32 s14, s13
	s_cbranch_execnz .LBB12_15
; %bb.12:                               ;   in Loop: Header=BB12_3 Depth=1
	s_or_b32 exec_lo, exec_lo, s14
	s_and_saveexec_b32 s13, s34
	s_cbranch_execnz .LBB12_16
.LBB12_13:                              ;   in Loop: Header=BB12_3 Depth=1
	s_or_b32 exec_lo, exec_lo, s13
	s_and_saveexec_b32 s13, s35
	s_cbranch_execnz .LBB12_17
.LBB12_14:                              ;   in Loop: Header=BB12_3 Depth=1
	s_or_b32 exec_lo, exec_lo, s13
	s_and_saveexec_b32 s13, s36
	s_cbranch_execz .LBB12_2
	s_branch .LBB12_18
.LBB12_15:                              ;   in Loop: Header=BB12_3 Depth=1
	s_delay_alu instid0(VALU_DEP_1)
	v_lshl_add_u64 v[10:11], v[4:5], 2, s[0:1]
	s_wait_loadcnt 0x0
	global_store_b32 v[10:11], v8, off
	s_wait_xcnt 0x0
	s_or_b32 exec_lo, exec_lo, s14
	s_and_saveexec_b32 s13, s34
	s_cbranch_execz .LBB12_13
.LBB12_16:                              ;   in Loop: Header=BB12_3 Depth=1
	s_delay_alu instid0(VALU_DEP_1)
	v_lshl_add_u64 v[10:11], v[4:5], 2, s[24:25]
	s_wait_loadcnt 0x0
	global_store_b32 v[10:11], v7, off
	s_wait_xcnt 0x0
	s_or_b32 exec_lo, exec_lo, s13
	s_and_saveexec_b32 s13, s35
	s_cbranch_execz .LBB12_14
.LBB12_17:                              ;   in Loop: Header=BB12_3 Depth=1
	s_delay_alu instid0(VALU_DEP_1)
	v_lshl_add_u64 v[10:11], v[4:5], 2, s[26:27]
	s_wait_loadcnt 0x0
	global_store_b32 v[10:11], v6, off
	s_wait_xcnt 0x0
	s_or_b32 exec_lo, exec_lo, s13
	s_and_saveexec_b32 s13, s36
	s_cbranch_execz .LBB12_2
.LBB12_18:                              ;   in Loop: Header=BB12_3 Depth=1
	v_lshl_add_u64 v[4:5], v[4:5], 2, s[28:29]
	s_wait_loadcnt 0x0
	global_store_b32 v[4:5], v1, off
	s_branch .LBB12_2
.LBB12_19:
	s_endpgm
	.section	.rodata,"a",@progbits
	.p2align	6, 0x0
	.amdhsa_kernel batched_transpose_4x256_dword
		.amdhsa_group_segment_fixed_size 0
		.amdhsa_private_segment_fixed_size 0
		.amdhsa_kernarg_size 48
		.amdhsa_user_sgpr_count 2
		.amdhsa_user_sgpr_dispatch_ptr 0
		.amdhsa_user_sgpr_queue_ptr 0
		.amdhsa_user_sgpr_kernarg_segment_ptr 1
		.amdhsa_user_sgpr_dispatch_id 0
		.amdhsa_user_sgpr_kernarg_preload_length 0
		.amdhsa_user_sgpr_kernarg_preload_offset 0
		.amdhsa_user_sgpr_private_segment_size 0
		.amdhsa_wavefront_size32 1
		.amdhsa_uses_dynamic_stack 0
		.amdhsa_enable_private_segment 0
		.amdhsa_system_sgpr_workgroup_id_x 1
		.amdhsa_system_sgpr_workgroup_id_y 0
		.amdhsa_system_sgpr_workgroup_id_z 0
		.amdhsa_system_sgpr_workgroup_info 0
		.amdhsa_system_vgpr_workitem_id 0
		.amdhsa_next_free_vgpr 12
		.amdhsa_next_free_sgpr 37
		.amdhsa_named_barrier_count 0
		.amdhsa_reserve_vcc 1
		.amdhsa_float_round_mode_32 0
		.amdhsa_float_round_mode_16_64 0
		.amdhsa_float_denorm_mode_32 3
		.amdhsa_float_denorm_mode_16_64 3
		.amdhsa_fp16_overflow 0
		.amdhsa_memory_ordered 1
		.amdhsa_forward_progress 1
		.amdhsa_inst_pref_size 7
		.amdhsa_round_robin_scheduling 0
		.amdhsa_exception_fp_ieee_invalid_op 0
		.amdhsa_exception_fp_denorm_src 0
		.amdhsa_exception_fp_ieee_div_zero 0
		.amdhsa_exception_fp_ieee_overflow 0
		.amdhsa_exception_fp_ieee_underflow 0
		.amdhsa_exception_fp_ieee_inexact 0
		.amdhsa_exception_int_div_zero 0
	.end_amdhsa_kernel
	.text
.Lfunc_end12:
	.size	batched_transpose_4x256_dword, .Lfunc_end12-batched_transpose_4x256_dword
                                        ; -- End function
	.set batched_transpose_4x256_dword.num_vgpr, 12
	.set batched_transpose_4x256_dword.num_agpr, 0
	.set batched_transpose_4x256_dword.numbered_sgpr, 37
	.set batched_transpose_4x256_dword.num_named_barrier, 0
	.set batched_transpose_4x256_dword.private_seg_size, 0
	.set batched_transpose_4x256_dword.uses_vcc, 1
	.set batched_transpose_4x256_dword.uses_flat_scratch, 0
	.set batched_transpose_4x256_dword.has_dyn_sized_stack, 0
	.set batched_transpose_4x256_dword.has_recursion, 0
	.set batched_transpose_4x256_dword.has_indirect_call, 0
	.section	.AMDGPU.csdata,"",@progbits
; Kernel info:
; codeLenInByte = 780
; TotalNumSgprs: 39
; NumVgprs: 12
; ScratchSize: 0
; MemoryBound: 0
; FloatMode: 240
; IeeeMode: 1
; LDSByteSize: 0 bytes/workgroup (compile time only)
; SGPRBlocks: 0
; VGPRBlocks: 0
; NumSGPRsForWavesPerEU: 39
; NumVGPRsForWavesPerEU: 12
; NamedBarCnt: 0
; Occupancy: 16
; WaveLimiterHint : 0
; COMPUTE_PGM_RSRC2:SCRATCH_EN: 0
; COMPUTE_PGM_RSRC2:USER_SGPR: 2
; COMPUTE_PGM_RSRC2:TRAP_HANDLER: 0
; COMPUTE_PGM_RSRC2:TGID_X_EN: 1
; COMPUTE_PGM_RSRC2:TGID_Y_EN: 0
; COMPUTE_PGM_RSRC2:TGID_Z_EN: 0
; COMPUTE_PGM_RSRC2:TIDIG_COMP_CNT: 0
	.text
	.protected	batched_transpose_4x256_half ; -- Begin function batched_transpose_4x256_half
	.globl	batched_transpose_4x256_half
	.p2align	8
	.type	batched_transpose_4x256_half,@function
batched_transpose_4x256_half:           ; @batched_transpose_4x256_half
; %bb.0:
	s_load_b256 s[4:11], s[0:1], 0x10
	s_bfe_u32 s2, ttmp6, 0x4000c
	s_and_b32 s3, ttmp6, 15
	s_add_co_i32 s2, s2, 1
	s_getreg_b32 s12, hwreg(HW_REG_IB_STS2, 6, 4)
	s_mul_i32 s2, ttmp9, s2
	s_mov_b32 s15, 0
	s_add_co_i32 s3, s3, s2
	s_cmp_eq_u32 s12, 0
	s_cselect_b32 s12, ttmp9, s3
	s_wait_kmcnt 0x0
	s_cmp_ge_u32 s12, s7
	s_cbranch_scc1 .LBB13_19
; %bb.1:
	s_load_b128 s[0:3], s[0:1], 0x0
	s_lshl_b32 s14, s4, 1
	s_add_co_i32 s28, s5, 3
	s_mov_b32 s20, s4
	s_mov_b32 s21, s15
	s_lshl_b64 s[26:27], s[14:15], 1
	s_mul_i32 s14, s4, 3
	v_mov_b32_e32 v3, 0
	s_add_co_i32 s13, s4, 0xff
	s_mov_b32 s16, s10
	s_lshl_b64 s[24:25], s[20:21], 1
	s_and_b32 s10, s28, -4
	s_lshl_b64 s[28:29], s[14:15], 1
	s_mov_b32 s17, s15
	s_mov_b32 s18, s8
	;; [unrolled: 1-line block ×5, first 2 shown]
	s_lshr_b32 s8, s13, 8
	s_sub_co_i32 s10, 0, s10
	s_wait_kmcnt 0x0
	s_add_nc_u64 s[24:25], s[0:1], s[24:25]
	s_add_nc_u64 s[26:27], s[0:1], s[26:27]
	;; [unrolled: 1-line block ×3, first 2 shown]
	s_lshl_b32 s21, s12, 2
	s_lshl_b32 s33, s6, 2
                                        ; implicit-def: $vgpr1
                                        ; implicit-def: $vgpr6
                                        ; implicit-def: $vgpr7
                                        ; implicit-def: $vgpr8
	s_branch .LBB13_3
.LBB13_2:                               ;   in Loop: Header=BB13_3 Depth=1
	s_wait_xcnt 0x0
	s_or_b32 exec_lo, exec_lo, s13
	s_add_co_i32 s12, s12, s6
	s_add_co_i32 s21, s21, s33
	s_cmp_lt_u32 s12, s7
	s_cbranch_scc0 .LBB13_19
.LBB13_3:                               ; =>This Inner Loop Header: Depth=1
	s_mov_b32 s13, s15
	s_delay_alu instid0(SALU_CYCLE_1) | instskip(NEXT) | instid1(SALU_CYCLE_1)
	s_mul_u64 s[30:31], s[16:17], s[12:13]
	s_add_co_i32 s13, s12, s31
	s_delay_alu instid0(SALU_CYCLE_1) | instskip(NEXT) | instid1(SALU_CYCLE_1)
	s_lshr_b32 s14, s13, s11
	s_mul_u64 s[30:31], s[14:15], s[18:19]
	s_delay_alu instid0(SALU_CYCLE_1) | instskip(NEXT) | instid1(SALU_CYCLE_1)
	s_add_co_i32 s13, s14, s31
	s_lshr_b32 s30, s13, s9
	s_delay_alu instid0(SALU_CYCLE_1) | instskip(NEXT) | instid1(SALU_CYCLE_1)
	s_mul_i32 s13, s30, s8
	s_sub_co_i32 s13, s14, s13
	s_delay_alu instid0(SALU_CYCLE_1) | instskip(SKIP_1) | instid1(SALU_CYCLE_1)
	v_lshl_or_b32 v2, s13, 8, v0
	s_mul_i32 s13, s10, s14
	s_add_co_i32 s14, s21, s13
	s_delay_alu instid0(SALU_CYCLE_1) | instskip(NEXT) | instid1(VALU_DEP_1)
	s_cmp_lt_u32 s14, s5
	v_mad_nc_u64_u32 v[4:5], s30, s20, v[2:3]
	v_cmp_gt_u32_e32 vcc_lo, s4, v2
	s_cselect_b32 s13, -1, 0
	s_delay_alu instid0(SALU_CYCLE_1) | instskip(NEXT) | instid1(VALU_DEP_2)
	s_and_b32 s13, s13, vcc_lo
	v_mad_nc_u64_u32 v[10:11], v4, s22, s[14:15]
	s_delay_alu instid0(VALU_DEP_1) | instskip(NEXT) | instid1(VALU_DEP_1)
	v_mad_u32 v11, v5, s22, v11
	v_lshl_add_u64 v[4:5], v[10:11], 1, s[2:3]
	s_and_saveexec_b32 s31, s13
	s_cbranch_execz .LBB13_5
; %bb.4:                                ;   in Loop: Header=BB13_3 Depth=1
	s_wait_loadcnt 0x0
	global_load_u16 v8, v[4:5], off
.LBB13_5:                               ;   in Loop: Header=BB13_3 Depth=1
	s_wait_xcnt 0x0
	s_or_b32 exec_lo, exec_lo, s31
	s_add_co_i32 s31, s14, 1
	s_delay_alu instid0(SALU_CYCLE_1) | instskip(SKIP_1) | instid1(SALU_CYCLE_1)
	s_cmp_lt_u32 s31, s5
	s_cselect_b32 s31, -1, 0
	s_and_b32 s34, vcc_lo, s31
	s_delay_alu instid0(SALU_CYCLE_1)
	s_and_saveexec_b32 s31, s34
	s_cbranch_execz .LBB13_7
; %bb.6:                                ;   in Loop: Header=BB13_3 Depth=1
	s_wait_loadcnt 0x0
	global_load_u16 v7, v[4:5], off offset:2
.LBB13_7:                               ;   in Loop: Header=BB13_3 Depth=1
	s_wait_xcnt 0x0
	s_or_b32 exec_lo, exec_lo, s31
	s_add_co_i32 s31, s14, 2
	s_delay_alu instid0(SALU_CYCLE_1) | instskip(SKIP_1) | instid1(SALU_CYCLE_1)
	s_cmp_lt_u32 s31, s5
	s_cselect_b32 s31, -1, 0
	s_and_b32 s35, vcc_lo, s31
	s_delay_alu instid0(SALU_CYCLE_1)
	s_and_saveexec_b32 s31, s35
	s_cbranch_execz .LBB13_9
; %bb.8:                                ;   in Loop: Header=BB13_3 Depth=1
	s_wait_loadcnt 0x0
	global_load_u16 v6, v[4:5], off offset:4
.LBB13_9:                               ;   in Loop: Header=BB13_3 Depth=1
	s_wait_xcnt 0x0
	s_or_b32 exec_lo, exec_lo, s31
	s_add_co_i32 s31, s14, 3
	s_delay_alu instid0(SALU_CYCLE_1) | instskip(SKIP_1) | instid1(SALU_CYCLE_1)
	s_cmp_lt_u32 s31, s5
	s_cselect_b32 s31, -1, 0
	s_and_b32 s36, vcc_lo, s31
	s_delay_alu instid0(SALU_CYCLE_1)
	s_and_saveexec_b32 s31, s36
	s_cbranch_execz .LBB13_11
; %bb.10:                               ;   in Loop: Header=BB13_3 Depth=1
	s_wait_loadcnt 0x0
	global_load_u16 v1, v[4:5], off offset:6
.LBB13_11:                              ;   in Loop: Header=BB13_3 Depth=1
	s_wait_xcnt 0x0
	s_or_b32 exec_lo, exec_lo, s31
	s_mov_b32 s31, s15
	s_delay_alu instid0(SALU_CYCLE_1) | instskip(NEXT) | instid1(SALU_CYCLE_1)
	s_mul_u64 s[30:31], s[30:31], s[22:23]
	s_add_nc_u64 s[30:31], s[30:31], s[14:15]
	s_delay_alu instid0(SALU_CYCLE_1) | instskip(NEXT) | instid1(VALU_DEP_1)
	v_mad_nc_u64_u32 v[4:5], s30, s20, v[2:3]
	v_mad_u32 v5, s31, s20, v5
	s_and_saveexec_b32 s14, s13
	s_cbranch_execnz .LBB13_15
; %bb.12:                               ;   in Loop: Header=BB13_3 Depth=1
	s_or_b32 exec_lo, exec_lo, s14
	s_and_saveexec_b32 s13, s34
	s_cbranch_execnz .LBB13_16
.LBB13_13:                              ;   in Loop: Header=BB13_3 Depth=1
	s_or_b32 exec_lo, exec_lo, s13
	s_and_saveexec_b32 s13, s35
	s_cbranch_execnz .LBB13_17
.LBB13_14:                              ;   in Loop: Header=BB13_3 Depth=1
	s_or_b32 exec_lo, exec_lo, s13
	s_and_saveexec_b32 s13, s36
	s_cbranch_execz .LBB13_2
	s_branch .LBB13_18
.LBB13_15:                              ;   in Loop: Header=BB13_3 Depth=1
	s_delay_alu instid0(VALU_DEP_1)
	v_lshl_add_u64 v[10:11], v[4:5], 1, s[0:1]
	s_wait_loadcnt 0x0
	global_store_b16 v[10:11], v8, off
	s_wait_xcnt 0x0
	s_or_b32 exec_lo, exec_lo, s14
	s_and_saveexec_b32 s13, s34
	s_cbranch_execz .LBB13_13
.LBB13_16:                              ;   in Loop: Header=BB13_3 Depth=1
	s_delay_alu instid0(VALU_DEP_1)
	v_lshl_add_u64 v[10:11], v[4:5], 1, s[24:25]
	s_wait_loadcnt 0x0
	global_store_b16 v[10:11], v7, off
	s_wait_xcnt 0x0
	s_or_b32 exec_lo, exec_lo, s13
	s_and_saveexec_b32 s13, s35
	s_cbranch_execz .LBB13_14
.LBB13_17:                              ;   in Loop: Header=BB13_3 Depth=1
	s_delay_alu instid0(VALU_DEP_1)
	v_lshl_add_u64 v[10:11], v[4:5], 1, s[26:27]
	s_wait_loadcnt 0x0
	global_store_b16 v[10:11], v6, off
	s_wait_xcnt 0x0
	s_or_b32 exec_lo, exec_lo, s13
	s_and_saveexec_b32 s13, s36
	s_cbranch_execz .LBB13_2
.LBB13_18:                              ;   in Loop: Header=BB13_3 Depth=1
	v_lshl_add_u64 v[4:5], v[4:5], 1, s[28:29]
	s_wait_loadcnt 0x0
	global_store_b16 v[4:5], v1, off
	s_branch .LBB13_2
.LBB13_19:
	s_endpgm
	.section	.rodata,"a",@progbits
	.p2align	6, 0x0
	.amdhsa_kernel batched_transpose_4x256_half
		.amdhsa_group_segment_fixed_size 0
		.amdhsa_private_segment_fixed_size 0
		.amdhsa_kernarg_size 48
		.amdhsa_user_sgpr_count 2
		.amdhsa_user_sgpr_dispatch_ptr 0
		.amdhsa_user_sgpr_queue_ptr 0
		.amdhsa_user_sgpr_kernarg_segment_ptr 1
		.amdhsa_user_sgpr_dispatch_id 0
		.amdhsa_user_sgpr_kernarg_preload_length 0
		.amdhsa_user_sgpr_kernarg_preload_offset 0
		.amdhsa_user_sgpr_private_segment_size 0
		.amdhsa_wavefront_size32 1
		.amdhsa_uses_dynamic_stack 0
		.amdhsa_enable_private_segment 0
		.amdhsa_system_sgpr_workgroup_id_x 1
		.amdhsa_system_sgpr_workgroup_id_y 0
		.amdhsa_system_sgpr_workgroup_id_z 0
		.amdhsa_system_sgpr_workgroup_info 0
		.amdhsa_system_vgpr_workitem_id 0
		.amdhsa_next_free_vgpr 12
		.amdhsa_next_free_sgpr 37
		.amdhsa_named_barrier_count 0
		.amdhsa_reserve_vcc 1
		.amdhsa_float_round_mode_32 0
		.amdhsa_float_round_mode_16_64 0
		.amdhsa_float_denorm_mode_32 3
		.amdhsa_float_denorm_mode_16_64 3
		.amdhsa_fp16_overflow 0
		.amdhsa_memory_ordered 1
		.amdhsa_forward_progress 1
		.amdhsa_inst_pref_size 7
		.amdhsa_round_robin_scheduling 0
		.amdhsa_exception_fp_ieee_invalid_op 0
		.amdhsa_exception_fp_denorm_src 0
		.amdhsa_exception_fp_ieee_div_zero 0
		.amdhsa_exception_fp_ieee_overflow 0
		.amdhsa_exception_fp_ieee_underflow 0
		.amdhsa_exception_fp_ieee_inexact 0
		.amdhsa_exception_int_div_zero 0
	.end_amdhsa_kernel
	.text
.Lfunc_end13:
	.size	batched_transpose_4x256_half, .Lfunc_end13-batched_transpose_4x256_half
                                        ; -- End function
	.set batched_transpose_4x256_half.num_vgpr, 12
	.set batched_transpose_4x256_half.num_agpr, 0
	.set batched_transpose_4x256_half.numbered_sgpr, 37
	.set batched_transpose_4x256_half.num_named_barrier, 0
	.set batched_transpose_4x256_half.private_seg_size, 0
	.set batched_transpose_4x256_half.uses_vcc, 1
	.set batched_transpose_4x256_half.uses_flat_scratch, 0
	.set batched_transpose_4x256_half.has_dyn_sized_stack, 0
	.set batched_transpose_4x256_half.has_recursion, 0
	.set batched_transpose_4x256_half.has_indirect_call, 0
	.section	.AMDGPU.csdata,"",@progbits
; Kernel info:
; codeLenInByte = 780
; TotalNumSgprs: 39
; NumVgprs: 12
; ScratchSize: 0
; MemoryBound: 0
; FloatMode: 240
; IeeeMode: 1
; LDSByteSize: 0 bytes/workgroup (compile time only)
; SGPRBlocks: 0
; VGPRBlocks: 0
; NumSGPRsForWavesPerEU: 39
; NumVGPRsForWavesPerEU: 12
; NamedBarCnt: 0
; Occupancy: 16
; WaveLimiterHint : 0
; COMPUTE_PGM_RSRC2:SCRATCH_EN: 0
; COMPUTE_PGM_RSRC2:USER_SGPR: 2
; COMPUTE_PGM_RSRC2:TRAP_HANDLER: 0
; COMPUTE_PGM_RSRC2:TGID_X_EN: 1
; COMPUTE_PGM_RSRC2:TGID_Y_EN: 0
; COMPUTE_PGM_RSRC2:TGID_Z_EN: 0
; COMPUTE_PGM_RSRC2:TIDIG_COMP_CNT: 0
	.text
	.protected	batched_transpose_4x256_byte ; -- Begin function batched_transpose_4x256_byte
	.globl	batched_transpose_4x256_byte
	.p2align	8
	.type	batched_transpose_4x256_byte,@function
batched_transpose_4x256_byte:           ; @batched_transpose_4x256_byte
; %bb.0:
	s_load_b256 s[4:11], s[0:1], 0x10
	s_bfe_u32 s2, ttmp6, 0x4000c
	s_and_b32 s3, ttmp6, 15
	s_add_co_i32 s2, s2, 1
	s_getreg_b32 s12, hwreg(HW_REG_IB_STS2, 6, 4)
	s_mul_i32 s2, ttmp9, s2
	s_mov_b32 s15, 0
	s_add_co_i32 s3, s3, s2
	s_cmp_eq_u32 s12, 0
	s_cselect_b32 s12, ttmp9, s3
	s_wait_kmcnt 0x0
	s_cmp_ge_u32 s12, s7
	s_cbranch_scc1 .LBB14_19
; %bb.1:
	s_load_b128 s[0:3], s[0:1], 0x0
	s_add_co_i32 s24, s5, 3
	s_lshl_b32 s14, s4, 1
	s_and_b32 s24, s24, -4
	v_mov_b32_e32 v3, 0
	s_add_co_i32 s13, s4, 0xff
	s_mov_b32 s20, s4
	s_mov_b32 s21, s15
	s_sub_co_i32 s33, 0, s24
	s_mov_b32 s16, s10
	s_mov_b32 s17, s15
	;; [unrolled: 1-line block ×6, first 2 shown]
	s_lshl_b32 s8, s12, 2
	s_lshr_b32 s10, s13, 8
                                        ; implicit-def: $vgpr1
                                        ; implicit-def: $vgpr6
                                        ; implicit-def: $vgpr7
                                        ; implicit-def: $vgpr8
	s_wait_kmcnt 0x0
	s_add_nc_u64 s[24:25], s[0:1], s[14:15]
	s_mul_i32 s14, s4, 3
	s_add_nc_u64 s[26:27], s[0:1], s[20:21]
	s_add_nc_u64 s[28:29], s[0:1], s[14:15]
	s_lshl_b32 s21, s6, 2
	s_branch .LBB14_3
.LBB14_2:                               ;   in Loop: Header=BB14_3 Depth=1
	s_wait_xcnt 0x0
	s_or_b32 exec_lo, exec_lo, s13
	s_add_co_i32 s12, s12, s6
	s_add_co_i32 s8, s8, s21
	s_cmp_lt_u32 s12, s7
	s_cbranch_scc0 .LBB14_19
.LBB14_3:                               ; =>This Inner Loop Header: Depth=1
	s_mov_b32 s13, s15
	s_delay_alu instid0(SALU_CYCLE_1) | instskip(NEXT) | instid1(SALU_CYCLE_1)
	s_mul_u64 s[30:31], s[16:17], s[12:13]
	s_add_co_i32 s13, s12, s31
	s_delay_alu instid0(SALU_CYCLE_1) | instskip(NEXT) | instid1(SALU_CYCLE_1)
	s_lshr_b32 s14, s13, s11
	s_mul_u64 s[30:31], s[14:15], s[18:19]
	s_delay_alu instid0(SALU_CYCLE_1) | instskip(NEXT) | instid1(SALU_CYCLE_1)
	s_add_co_i32 s13, s14, s31
	s_lshr_b32 s30, s13, s9
	s_delay_alu instid0(SALU_CYCLE_1) | instskip(NEXT) | instid1(SALU_CYCLE_1)
	s_mul_i32 s13, s30, s10
	s_sub_co_i32 s13, s14, s13
	s_delay_alu instid0(SALU_CYCLE_1) | instskip(SKIP_1) | instid1(SALU_CYCLE_1)
	v_lshl_or_b32 v2, s13, 8, v0
	s_mul_i32 s13, s33, s14
	s_add_co_i32 s14, s8, s13
	s_delay_alu instid0(SALU_CYCLE_1) | instskip(NEXT) | instid1(VALU_DEP_1)
	s_cmp_lt_u32 s14, s5
	v_mad_nc_u64_u32 v[4:5], s30, s20, v[2:3]
	v_cmp_gt_u32_e32 vcc_lo, s4, v2
	s_cselect_b32 s13, -1, 0
	s_delay_alu instid0(SALU_CYCLE_1) | instskip(NEXT) | instid1(VALU_DEP_2)
	s_and_b32 s13, s13, vcc_lo
	v_mad_nc_u64_u32 v[10:11], v4, s22, s[14:15]
	s_delay_alu instid0(VALU_DEP_1) | instskip(NEXT) | instid1(VALU_DEP_1)
	v_mad_u32 v11, v5, s22, v11
	v_add_nc_u64_e32 v[4:5], s[2:3], v[10:11]
	s_and_saveexec_b32 s31, s13
	s_cbranch_execz .LBB14_5
; %bb.4:                                ;   in Loop: Header=BB14_3 Depth=1
	s_wait_loadcnt 0x0
	global_load_u8 v8, v[4:5], off
.LBB14_5:                               ;   in Loop: Header=BB14_3 Depth=1
	s_wait_xcnt 0x0
	s_or_b32 exec_lo, exec_lo, s31
	s_add_co_i32 s31, s14, 1
	s_delay_alu instid0(SALU_CYCLE_1) | instskip(SKIP_1) | instid1(SALU_CYCLE_1)
	s_cmp_lt_u32 s31, s5
	s_cselect_b32 s31, -1, 0
	s_and_b32 s34, vcc_lo, s31
	s_delay_alu instid0(SALU_CYCLE_1)
	s_and_saveexec_b32 s31, s34
	s_cbranch_execz .LBB14_7
; %bb.6:                                ;   in Loop: Header=BB14_3 Depth=1
	s_wait_loadcnt 0x0
	global_load_u8 v7, v[4:5], off offset:1
.LBB14_7:                               ;   in Loop: Header=BB14_3 Depth=1
	s_wait_xcnt 0x0
	s_or_b32 exec_lo, exec_lo, s31
	s_add_co_i32 s31, s14, 2
	s_delay_alu instid0(SALU_CYCLE_1) | instskip(SKIP_1) | instid1(SALU_CYCLE_1)
	s_cmp_lt_u32 s31, s5
	s_cselect_b32 s31, -1, 0
	s_and_b32 s35, vcc_lo, s31
	s_delay_alu instid0(SALU_CYCLE_1)
	s_and_saveexec_b32 s31, s35
	s_cbranch_execz .LBB14_9
; %bb.8:                                ;   in Loop: Header=BB14_3 Depth=1
	s_wait_loadcnt 0x0
	global_load_u8 v6, v[4:5], off offset:2
.LBB14_9:                               ;   in Loop: Header=BB14_3 Depth=1
	s_wait_xcnt 0x0
	s_or_b32 exec_lo, exec_lo, s31
	s_add_co_i32 s31, s14, 3
	s_delay_alu instid0(SALU_CYCLE_1) | instskip(SKIP_1) | instid1(SALU_CYCLE_1)
	s_cmp_lt_u32 s31, s5
	s_cselect_b32 s31, -1, 0
	s_and_b32 s36, vcc_lo, s31
	s_delay_alu instid0(SALU_CYCLE_1)
	s_and_saveexec_b32 s31, s36
	s_cbranch_execz .LBB14_11
; %bb.10:                               ;   in Loop: Header=BB14_3 Depth=1
	s_wait_loadcnt 0x0
	global_load_u8 v1, v[4:5], off offset:3
.LBB14_11:                              ;   in Loop: Header=BB14_3 Depth=1
	s_wait_xcnt 0x0
	s_or_b32 exec_lo, exec_lo, s31
	s_mov_b32 s31, s15
	s_delay_alu instid0(SALU_CYCLE_1) | instskip(NEXT) | instid1(SALU_CYCLE_1)
	s_mul_u64 s[30:31], s[30:31], s[22:23]
	s_add_nc_u64 s[30:31], s[30:31], s[14:15]
	s_delay_alu instid0(SALU_CYCLE_1) | instskip(NEXT) | instid1(VALU_DEP_1)
	v_mad_nc_u64_u32 v[4:5], s30, s20, v[2:3]
	v_mad_u32 v5, s31, s20, v5
	s_and_saveexec_b32 s14, s13
	s_cbranch_execnz .LBB14_15
; %bb.12:                               ;   in Loop: Header=BB14_3 Depth=1
	s_or_b32 exec_lo, exec_lo, s14
	s_and_saveexec_b32 s13, s34
	s_cbranch_execnz .LBB14_16
.LBB14_13:                              ;   in Loop: Header=BB14_3 Depth=1
	s_or_b32 exec_lo, exec_lo, s13
	s_and_saveexec_b32 s13, s35
	s_cbranch_execnz .LBB14_17
.LBB14_14:                              ;   in Loop: Header=BB14_3 Depth=1
	s_or_b32 exec_lo, exec_lo, s13
	s_and_saveexec_b32 s13, s36
	s_cbranch_execz .LBB14_2
	s_branch .LBB14_18
.LBB14_15:                              ;   in Loop: Header=BB14_3 Depth=1
	s_delay_alu instid0(VALU_DEP_1)
	v_add_nc_u64_e32 v[10:11], s[0:1], v[4:5]
	s_wait_loadcnt 0x0
	global_store_b8 v[10:11], v8, off
	s_wait_xcnt 0x0
	s_or_b32 exec_lo, exec_lo, s14
	s_and_saveexec_b32 s13, s34
	s_cbranch_execz .LBB14_13
.LBB14_16:                              ;   in Loop: Header=BB14_3 Depth=1
	s_delay_alu instid0(VALU_DEP_1)
	v_add_nc_u64_e32 v[10:11], s[26:27], v[4:5]
	s_wait_loadcnt 0x0
	global_store_b8 v[10:11], v7, off
	s_wait_xcnt 0x0
	s_or_b32 exec_lo, exec_lo, s13
	s_and_saveexec_b32 s13, s35
	s_cbranch_execz .LBB14_14
.LBB14_17:                              ;   in Loop: Header=BB14_3 Depth=1
	s_delay_alu instid0(VALU_DEP_1)
	v_add_nc_u64_e32 v[10:11], s[24:25], v[4:5]
	s_wait_loadcnt 0x0
	global_store_b8 v[10:11], v6, off
	s_wait_xcnt 0x0
	s_or_b32 exec_lo, exec_lo, s13
	s_and_saveexec_b32 s13, s36
	s_cbranch_execz .LBB14_2
.LBB14_18:                              ;   in Loop: Header=BB14_3 Depth=1
	v_add_nc_u64_e32 v[4:5], s[28:29], v[4:5]
	s_wait_loadcnt 0x0
	global_store_b8 v[4:5], v1, off
	s_branch .LBB14_2
.LBB14_19:
	s_endpgm
	.section	.rodata,"a",@progbits
	.p2align	6, 0x0
	.amdhsa_kernel batched_transpose_4x256_byte
		.amdhsa_group_segment_fixed_size 0
		.amdhsa_private_segment_fixed_size 0
		.amdhsa_kernarg_size 48
		.amdhsa_user_sgpr_count 2
		.amdhsa_user_sgpr_dispatch_ptr 0
		.amdhsa_user_sgpr_queue_ptr 0
		.amdhsa_user_sgpr_kernarg_segment_ptr 1
		.amdhsa_user_sgpr_dispatch_id 0
		.amdhsa_user_sgpr_kernarg_preload_length 0
		.amdhsa_user_sgpr_kernarg_preload_offset 0
		.amdhsa_user_sgpr_private_segment_size 0
		.amdhsa_wavefront_size32 1
		.amdhsa_uses_dynamic_stack 0
		.amdhsa_enable_private_segment 0
		.amdhsa_system_sgpr_workgroup_id_x 1
		.amdhsa_system_sgpr_workgroup_id_y 0
		.amdhsa_system_sgpr_workgroup_id_z 0
		.amdhsa_system_sgpr_workgroup_info 0
		.amdhsa_system_vgpr_workitem_id 0
		.amdhsa_next_free_vgpr 12
		.amdhsa_next_free_sgpr 37
		.amdhsa_named_barrier_count 0
		.amdhsa_reserve_vcc 1
		.amdhsa_float_round_mode_32 0
		.amdhsa_float_round_mode_16_64 0
		.amdhsa_float_denorm_mode_32 3
		.amdhsa_float_denorm_mode_16_64 3
		.amdhsa_fp16_overflow 0
		.amdhsa_memory_ordered 1
		.amdhsa_forward_progress 1
		.amdhsa_inst_pref_size 6
		.amdhsa_round_robin_scheduling 0
		.amdhsa_exception_fp_ieee_invalid_op 0
		.amdhsa_exception_fp_denorm_src 0
		.amdhsa_exception_fp_ieee_div_zero 0
		.amdhsa_exception_fp_ieee_overflow 0
		.amdhsa_exception_fp_ieee_underflow 0
		.amdhsa_exception_fp_ieee_inexact 0
		.amdhsa_exception_int_div_zero 0
	.end_amdhsa_kernel
	.text
.Lfunc_end14:
	.size	batched_transpose_4x256_byte, .Lfunc_end14-batched_transpose_4x256_byte
                                        ; -- End function
	.set batched_transpose_4x256_byte.num_vgpr, 12
	.set batched_transpose_4x256_byte.num_agpr, 0
	.set batched_transpose_4x256_byte.numbered_sgpr, 37
	.set batched_transpose_4x256_byte.num_named_barrier, 0
	.set batched_transpose_4x256_byte.private_seg_size, 0
	.set batched_transpose_4x256_byte.uses_vcc, 1
	.set batched_transpose_4x256_byte.uses_flat_scratch, 0
	.set batched_transpose_4x256_byte.has_dyn_sized_stack, 0
	.set batched_transpose_4x256_byte.has_recursion, 0
	.set batched_transpose_4x256_byte.has_indirect_call, 0
	.section	.AMDGPU.csdata,"",@progbits
; Kernel info:
; codeLenInByte = 748
; TotalNumSgprs: 39
; NumVgprs: 12
; ScratchSize: 0
; MemoryBound: 0
; FloatMode: 240
; IeeeMode: 1
; LDSByteSize: 0 bytes/workgroup (compile time only)
; SGPRBlocks: 0
; VGPRBlocks: 0
; NumSGPRsForWavesPerEU: 39
; NumVGPRsForWavesPerEU: 12
; NamedBarCnt: 0
; Occupancy: 16
; WaveLimiterHint : 0
; COMPUTE_PGM_RSRC2:SCRATCH_EN: 0
; COMPUTE_PGM_RSRC2:USER_SGPR: 2
; COMPUTE_PGM_RSRC2:TRAP_HANDLER: 0
; COMPUTE_PGM_RSRC2:TGID_X_EN: 1
; COMPUTE_PGM_RSRC2:TGID_Y_EN: 0
; COMPUTE_PGM_RSRC2:TGID_Z_EN: 0
; COMPUTE_PGM_RSRC2:TIDIG_COMP_CNT: 0
	.text
	.protected	batched_transpose_256x4_dword ; -- Begin function batched_transpose_256x4_dword
	.globl	batched_transpose_256x4_dword
	.p2align	8
	.type	batched_transpose_256x4_dword,@function
batched_transpose_256x4_dword:          ; @batched_transpose_256x4_dword
; %bb.0:
	s_load_b256 s[4:11], s[0:1], 0x10
	s_bfe_u32 s2, ttmp6, 0x4000c
	s_and_b32 s3, ttmp6, 15
	s_add_co_i32 s2, s2, 1
	s_getreg_b32 s12, hwreg(HW_REG_IB_STS2, 6, 4)
	s_mul_i32 s2, ttmp9, s2
	s_mov_b32 s15, 0
	s_add_co_i32 s3, s3, s2
	s_cmp_eq_u32 s12, 0
	s_cselect_b32 s12, ttmp9, s3
	s_wait_kmcnt 0x0
	s_cmp_ge_u32 s12, s7
	s_cbranch_scc1 .LBB15_19
; %bb.1:
	s_load_b128 s[0:3], s[0:1], 0x0
	s_lshl_b32 s14, s5, 1
	s_add_co_i32 s28, s5, 0xff
	s_mov_b32 s22, s5
	s_mov_b32 s23, s15
	s_lshl_b64 s[26:27], s[14:15], 2
	s_mul_i32 s14, s5, 3
	v_lshl_or_b32 v4, s12, 8, v0
	v_mov_b32_e32 v1, 0
	s_add_co_i32 s13, s4, 3
	s_mov_b32 s16, s10
	s_lshl_b64 s[24:25], s[22:23], 2
	s_and_b32 s10, s28, 0xffffff00
	s_lshl_b64 s[28:29], s[14:15], 2
	s_mov_b32 s17, s15
	s_mov_b32 s18, s8
	;; [unrolled: 1-line block ×5, first 2 shown]
	s_lshr_b32 s8, s13, 2
	s_wait_kmcnt 0x0
	s_add_nc_u64 s[24:25], s[2:3], s[24:25]
	s_add_nc_u64 s[26:27], s[2:3], s[26:27]
	;; [unrolled: 1-line block ×3, first 2 shown]
	s_sub_co_i32 s10, 0, s10
	s_lshl_b32 s23, s6, 8
                                        ; implicit-def: $vgpr5
                                        ; implicit-def: $vgpr6
                                        ; implicit-def: $vgpr7
                                        ; implicit-def: $vgpr8
	s_branch .LBB15_3
.LBB15_2:                               ;   in Loop: Header=BB15_3 Depth=1
	s_wait_xcnt 0x0
	s_or_b32 exec_lo, exec_lo, s13
	v_add_nc_u32_e32 v4, s23, v4
	s_add_co_i32 s12, s12, s6
	s_delay_alu instid0(SALU_CYCLE_1)
	s_cmp_lt_u32 s12, s7
	s_cbranch_scc0 .LBB15_19
.LBB15_3:                               ; =>This Inner Loop Header: Depth=1
	s_mov_b32 s13, s15
	s_delay_alu instid0(SALU_CYCLE_1) | instskip(NEXT) | instid1(SALU_CYCLE_1)
	s_mul_u64 s[30:31], s[16:17], s[12:13]
	s_add_co_i32 s13, s12, s31
	s_delay_alu instid0(SALU_CYCLE_1) | instskip(NEXT) | instid1(SALU_CYCLE_1)
	s_lshr_b32 s14, s13, s11
	s_mul_u64 s[30:31], s[14:15], s[18:19]
	v_mad_u32 v0, s10, s14, v4
	s_add_co_i32 s13, s14, s31
	s_mov_b32 s31, s15
	s_lshr_b32 s13, s13, s9
	s_delay_alu instid0(SALU_CYCLE_1) | instskip(NEXT) | instid1(SALU_CYCLE_1)
	s_mul_i32 s30, s13, s8
	s_sub_co_i32 s30, s14, s30
	s_mov_b32 s14, s13
	s_lshl_b32 s30, s30, 2
	s_mul_u64 s[34:35], s[14:15], s[20:21]
	s_delay_alu instid0(VALU_DEP_1) | instskip(SKIP_4) | instid1(SALU_CYCLE_1)
	v_cmp_gt_u32_e32 vcc_lo, s5, v0
	s_add_nc_u64 s[34:35], s[34:35], s[30:31]
	s_cmp_lt_u32 s30, s4
	v_mad_nc_u64_u32 v[2:3], s34, s22, v[0:1]
	s_cselect_b32 s13, -1, 0
	s_and_b32 s13, vcc_lo, s13
	s_delay_alu instid0(VALU_DEP_1)
	v_mad_u32 v3, s35, s22, v3
	s_and_saveexec_b32 s33, s13
	s_cbranch_execz .LBB15_5
; %bb.4:                                ;   in Loop: Header=BB15_3 Depth=1
	s_wait_loadcnt 0x0
	s_delay_alu instid0(VALU_DEP_1)
	v_lshl_add_u64 v[8:9], v[2:3], 2, s[2:3]
	global_load_b32 v8, v[8:9], off
.LBB15_5:                               ;   in Loop: Header=BB15_3 Depth=1
	s_wait_xcnt 0x0
	s_or_b32 exec_lo, exec_lo, s33
	s_or_b32 s33, s30, 1
	s_delay_alu instid0(SALU_CYCLE_1) | instskip(SKIP_1) | instid1(SALU_CYCLE_1)
	s_cmp_lt_u32 s33, s4
	s_cselect_b32 s33, -1, 0
	s_and_b32 s33, vcc_lo, s33
	s_delay_alu instid0(SALU_CYCLE_1)
	s_and_saveexec_b32 s34, s33
	s_cbranch_execz .LBB15_7
; %bb.6:                                ;   in Loop: Header=BB15_3 Depth=1
	v_lshl_add_u64 v[10:11], v[2:3], 2, s[24:25]
	s_wait_loadcnt 0x0
	global_load_b32 v7, v[10:11], off
.LBB15_7:                               ;   in Loop: Header=BB15_3 Depth=1
	s_wait_xcnt 0x0
	s_or_b32 exec_lo, exec_lo, s34
	s_or_b32 s34, s30, 2
	s_delay_alu instid0(SALU_CYCLE_1) | instskip(SKIP_1) | instid1(SALU_CYCLE_1)
	s_cmp_lt_u32 s34, s4
	s_cselect_b32 s34, -1, 0
	s_and_b32 s34, vcc_lo, s34
	s_delay_alu instid0(SALU_CYCLE_1)
	s_and_saveexec_b32 s35, s34
	s_cbranch_execz .LBB15_9
; %bb.8:                                ;   in Loop: Header=BB15_3 Depth=1
	v_lshl_add_u64 v[10:11], v[2:3], 2, s[26:27]
	s_wait_loadcnt 0x0
	global_load_b32 v6, v[10:11], off
.LBB15_9:                               ;   in Loop: Header=BB15_3 Depth=1
	s_wait_xcnt 0x0
	s_or_b32 exec_lo, exec_lo, s35
	s_or_b32 s35, s30, 3
	s_delay_alu instid0(SALU_CYCLE_1) | instskip(SKIP_1) | instid1(SALU_CYCLE_1)
	s_cmp_lt_u32 s35, s4
	s_cselect_b32 s35, -1, 0
	s_and_b32 s35, vcc_lo, s35
	s_delay_alu instid0(SALU_CYCLE_1)
	s_and_saveexec_b32 s36, s35
	s_cbranch_execz .LBB15_11
; %bb.10:                               ;   in Loop: Header=BB15_3 Depth=1
	v_lshl_add_u64 v[2:3], v[2:3], 2, s[28:29]
	s_wait_loadcnt 0x0
	global_load_b32 v5, v[2:3], off
.LBB15_11:                              ;   in Loop: Header=BB15_3 Depth=1
	s_wait_xcnt 0x0
	s_or_b32 exec_lo, exec_lo, s36
	v_mad_nc_u64_u32 v[2:3], s14, s22, v[0:1]
	s_delay_alu instid0(VALU_DEP_1) | instskip(NEXT) | instid1(VALU_DEP_1)
	v_mad_nc_u64_u32 v[10:11], v2, s20, s[30:31]
	v_mad_u32 v11, v3, s20, v11
	s_delay_alu instid0(VALU_DEP_1)
	v_lshl_add_u64 v[2:3], v[10:11], 2, s[0:1]
	s_and_saveexec_b32 s14, s13
	s_cbranch_execnz .LBB15_15
; %bb.12:                               ;   in Loop: Header=BB15_3 Depth=1
	s_or_b32 exec_lo, exec_lo, s14
	s_and_saveexec_b32 s13, s33
	s_cbranch_execnz .LBB15_16
.LBB15_13:                              ;   in Loop: Header=BB15_3 Depth=1
	s_or_b32 exec_lo, exec_lo, s13
	s_and_saveexec_b32 s13, s34
	s_cbranch_execnz .LBB15_17
.LBB15_14:                              ;   in Loop: Header=BB15_3 Depth=1
	s_or_b32 exec_lo, exec_lo, s13
	s_and_saveexec_b32 s13, s35
	s_cbranch_execz .LBB15_2
	s_branch .LBB15_18
.LBB15_15:                              ;   in Loop: Header=BB15_3 Depth=1
	s_wait_loadcnt 0x0
	global_store_b32 v[2:3], v8, off
	s_wait_xcnt 0x0
	s_or_b32 exec_lo, exec_lo, s14
	s_and_saveexec_b32 s13, s33
	s_cbranch_execz .LBB15_13
.LBB15_16:                              ;   in Loop: Header=BB15_3 Depth=1
	s_wait_loadcnt 0x0
	global_store_b32 v[2:3], v7, off offset:4
	s_wait_xcnt 0x0
	s_or_b32 exec_lo, exec_lo, s13
	s_and_saveexec_b32 s13, s34
	s_cbranch_execz .LBB15_14
.LBB15_17:                              ;   in Loop: Header=BB15_3 Depth=1
	s_wait_loadcnt 0x0
	global_store_b32 v[2:3], v6, off offset:8
	s_wait_xcnt 0x0
	s_or_b32 exec_lo, exec_lo, s13
	s_and_saveexec_b32 s13, s35
	s_cbranch_execz .LBB15_2
.LBB15_18:                              ;   in Loop: Header=BB15_3 Depth=1
	s_wait_loadcnt 0x0
	global_store_b32 v[2:3], v5, off offset:12
	s_branch .LBB15_2
.LBB15_19:
	s_endpgm
	.section	.rodata,"a",@progbits
	.p2align	6, 0x0
	.amdhsa_kernel batched_transpose_256x4_dword
		.amdhsa_group_segment_fixed_size 0
		.amdhsa_private_segment_fixed_size 0
		.amdhsa_kernarg_size 48
		.amdhsa_user_sgpr_count 2
		.amdhsa_user_sgpr_dispatch_ptr 0
		.amdhsa_user_sgpr_queue_ptr 0
		.amdhsa_user_sgpr_kernarg_segment_ptr 1
		.amdhsa_user_sgpr_dispatch_id 0
		.amdhsa_user_sgpr_kernarg_preload_length 0
		.amdhsa_user_sgpr_kernarg_preload_offset 0
		.amdhsa_user_sgpr_private_segment_size 0
		.amdhsa_wavefront_size32 1
		.amdhsa_uses_dynamic_stack 0
		.amdhsa_enable_private_segment 0
		.amdhsa_system_sgpr_workgroup_id_x 1
		.amdhsa_system_sgpr_workgroup_id_y 0
		.amdhsa_system_sgpr_workgroup_id_z 0
		.amdhsa_system_sgpr_workgroup_info 0
		.amdhsa_system_vgpr_workitem_id 0
		.amdhsa_next_free_vgpr 12
		.amdhsa_next_free_sgpr 37
		.amdhsa_named_barrier_count 0
		.amdhsa_reserve_vcc 1
		.amdhsa_float_round_mode_32 0
		.amdhsa_float_round_mode_16_64 0
		.amdhsa_float_denorm_mode_32 3
		.amdhsa_float_denorm_mode_16_64 3
		.amdhsa_fp16_overflow 0
		.amdhsa_memory_ordered 1
		.amdhsa_forward_progress 1
		.amdhsa_inst_pref_size 7
		.amdhsa_round_robin_scheduling 0
		.amdhsa_exception_fp_ieee_invalid_op 0
		.amdhsa_exception_fp_denorm_src 0
		.amdhsa_exception_fp_ieee_div_zero 0
		.amdhsa_exception_fp_ieee_overflow 0
		.amdhsa_exception_fp_ieee_underflow 0
		.amdhsa_exception_fp_ieee_inexact 0
		.amdhsa_exception_int_div_zero 0
	.end_amdhsa_kernel
	.text
.Lfunc_end15:
	.size	batched_transpose_256x4_dword, .Lfunc_end15-batched_transpose_256x4_dword
                                        ; -- End function
	.set batched_transpose_256x4_dword.num_vgpr, 12
	.set batched_transpose_256x4_dword.num_agpr, 0
	.set batched_transpose_256x4_dword.numbered_sgpr, 37
	.set batched_transpose_256x4_dword.num_named_barrier, 0
	.set batched_transpose_256x4_dword.private_seg_size, 0
	.set batched_transpose_256x4_dword.uses_vcc, 1
	.set batched_transpose_256x4_dword.uses_flat_scratch, 0
	.set batched_transpose_256x4_dword.has_dyn_sized_stack, 0
	.set batched_transpose_256x4_dword.has_recursion, 0
	.set batched_transpose_256x4_dword.has_indirect_call, 0
	.section	.AMDGPU.csdata,"",@progbits
; Kernel info:
; codeLenInByte = 772
; TotalNumSgprs: 39
; NumVgprs: 12
; ScratchSize: 0
; MemoryBound: 0
; FloatMode: 240
; IeeeMode: 1
; LDSByteSize: 0 bytes/workgroup (compile time only)
; SGPRBlocks: 0
; VGPRBlocks: 0
; NumSGPRsForWavesPerEU: 39
; NumVGPRsForWavesPerEU: 12
; NamedBarCnt: 0
; Occupancy: 16
; WaveLimiterHint : 0
; COMPUTE_PGM_RSRC2:SCRATCH_EN: 0
; COMPUTE_PGM_RSRC2:USER_SGPR: 2
; COMPUTE_PGM_RSRC2:TRAP_HANDLER: 0
; COMPUTE_PGM_RSRC2:TGID_X_EN: 1
; COMPUTE_PGM_RSRC2:TGID_Y_EN: 0
; COMPUTE_PGM_RSRC2:TGID_Z_EN: 0
; COMPUTE_PGM_RSRC2:TIDIG_COMP_CNT: 0
	.text
	.protected	batched_transpose_256x4_half ; -- Begin function batched_transpose_256x4_half
	.globl	batched_transpose_256x4_half
	.p2align	8
	.type	batched_transpose_256x4_half,@function
batched_transpose_256x4_half:           ; @batched_transpose_256x4_half
; %bb.0:
	s_load_b256 s[4:11], s[0:1], 0x10
	s_bfe_u32 s2, ttmp6, 0x4000c
	s_and_b32 s3, ttmp6, 15
	s_add_co_i32 s2, s2, 1
	s_getreg_b32 s12, hwreg(HW_REG_IB_STS2, 6, 4)
	s_mul_i32 s2, ttmp9, s2
	s_mov_b32 s15, 0
	s_add_co_i32 s3, s3, s2
	s_cmp_eq_u32 s12, 0
	s_cselect_b32 s12, ttmp9, s3
	s_wait_kmcnt 0x0
	s_cmp_ge_u32 s12, s7
	s_cbranch_scc1 .LBB16_19
; %bb.1:
	s_load_b128 s[0:3], s[0:1], 0x0
	s_lshl_b32 s14, s5, 1
	s_add_co_i32 s28, s5, 0xff
	s_mov_b32 s22, s5
	s_mov_b32 s23, s15
	s_lshl_b64 s[26:27], s[14:15], 1
	s_mul_i32 s14, s5, 3
	v_lshl_or_b32 v4, s12, 8, v0
	v_mov_b32_e32 v1, 0
	s_add_co_i32 s13, s4, 3
	s_mov_b32 s16, s10
	s_lshl_b64 s[24:25], s[22:23], 1
	s_and_b32 s10, s28, 0xffffff00
	s_lshl_b64 s[28:29], s[14:15], 1
	s_mov_b32 s17, s15
	s_mov_b32 s18, s8
	;; [unrolled: 1-line block ×5, first 2 shown]
	s_lshr_b32 s8, s13, 2
	s_wait_kmcnt 0x0
	s_add_nc_u64 s[24:25], s[2:3], s[24:25]
	s_add_nc_u64 s[26:27], s[2:3], s[26:27]
	;; [unrolled: 1-line block ×3, first 2 shown]
	s_sub_co_i32 s10, 0, s10
	s_lshl_b32 s23, s6, 8
                                        ; implicit-def: $vgpr5
                                        ; implicit-def: $vgpr6
                                        ; implicit-def: $vgpr7
                                        ; implicit-def: $vgpr8
	s_branch .LBB16_3
.LBB16_2:                               ;   in Loop: Header=BB16_3 Depth=1
	s_wait_xcnt 0x0
	s_or_b32 exec_lo, exec_lo, s13
	v_add_nc_u32_e32 v4, s23, v4
	s_add_co_i32 s12, s12, s6
	s_delay_alu instid0(SALU_CYCLE_1)
	s_cmp_lt_u32 s12, s7
	s_cbranch_scc0 .LBB16_19
.LBB16_3:                               ; =>This Inner Loop Header: Depth=1
	s_mov_b32 s13, s15
	s_delay_alu instid0(SALU_CYCLE_1) | instskip(NEXT) | instid1(SALU_CYCLE_1)
	s_mul_u64 s[30:31], s[16:17], s[12:13]
	s_add_co_i32 s13, s12, s31
	s_delay_alu instid0(SALU_CYCLE_1) | instskip(NEXT) | instid1(SALU_CYCLE_1)
	s_lshr_b32 s14, s13, s11
	s_mul_u64 s[30:31], s[14:15], s[18:19]
	v_mad_u32 v0, s10, s14, v4
	s_add_co_i32 s13, s14, s31
	s_mov_b32 s31, s15
	s_lshr_b32 s13, s13, s9
	s_delay_alu instid0(SALU_CYCLE_1) | instskip(NEXT) | instid1(SALU_CYCLE_1)
	s_mul_i32 s30, s13, s8
	s_sub_co_i32 s30, s14, s30
	s_mov_b32 s14, s13
	s_lshl_b32 s30, s30, 2
	s_mul_u64 s[34:35], s[14:15], s[20:21]
	s_delay_alu instid0(VALU_DEP_1) | instskip(SKIP_4) | instid1(SALU_CYCLE_1)
	v_cmp_gt_u32_e32 vcc_lo, s5, v0
	s_add_nc_u64 s[34:35], s[34:35], s[30:31]
	s_cmp_lt_u32 s30, s4
	v_mad_nc_u64_u32 v[2:3], s34, s22, v[0:1]
	s_cselect_b32 s13, -1, 0
	s_and_b32 s13, vcc_lo, s13
	s_delay_alu instid0(VALU_DEP_1)
	v_mad_u32 v3, s35, s22, v3
	s_and_saveexec_b32 s33, s13
	s_cbranch_execz .LBB16_5
; %bb.4:                                ;   in Loop: Header=BB16_3 Depth=1
	s_wait_loadcnt 0x0
	s_delay_alu instid0(VALU_DEP_1)
	v_lshl_add_u64 v[8:9], v[2:3], 1, s[2:3]
	global_load_u16 v8, v[8:9], off
.LBB16_5:                               ;   in Loop: Header=BB16_3 Depth=1
	s_wait_xcnt 0x0
	s_or_b32 exec_lo, exec_lo, s33
	s_or_b32 s33, s30, 1
	s_delay_alu instid0(SALU_CYCLE_1) | instskip(SKIP_1) | instid1(SALU_CYCLE_1)
	s_cmp_lt_u32 s33, s4
	s_cselect_b32 s33, -1, 0
	s_and_b32 s33, vcc_lo, s33
	s_delay_alu instid0(SALU_CYCLE_1)
	s_and_saveexec_b32 s34, s33
	s_cbranch_execz .LBB16_7
; %bb.6:                                ;   in Loop: Header=BB16_3 Depth=1
	v_lshl_add_u64 v[10:11], v[2:3], 1, s[24:25]
	s_wait_loadcnt 0x0
	global_load_u16 v7, v[10:11], off
.LBB16_7:                               ;   in Loop: Header=BB16_3 Depth=1
	s_wait_xcnt 0x0
	s_or_b32 exec_lo, exec_lo, s34
	s_or_b32 s34, s30, 2
	s_delay_alu instid0(SALU_CYCLE_1) | instskip(SKIP_1) | instid1(SALU_CYCLE_1)
	s_cmp_lt_u32 s34, s4
	s_cselect_b32 s34, -1, 0
	s_and_b32 s34, vcc_lo, s34
	s_delay_alu instid0(SALU_CYCLE_1)
	s_and_saveexec_b32 s35, s34
	s_cbranch_execz .LBB16_9
; %bb.8:                                ;   in Loop: Header=BB16_3 Depth=1
	v_lshl_add_u64 v[10:11], v[2:3], 1, s[26:27]
	s_wait_loadcnt 0x0
	global_load_u16 v6, v[10:11], off
.LBB16_9:                               ;   in Loop: Header=BB16_3 Depth=1
	s_wait_xcnt 0x0
	s_or_b32 exec_lo, exec_lo, s35
	s_or_b32 s35, s30, 3
	s_delay_alu instid0(SALU_CYCLE_1) | instskip(SKIP_1) | instid1(SALU_CYCLE_1)
	s_cmp_lt_u32 s35, s4
	s_cselect_b32 s35, -1, 0
	s_and_b32 s35, vcc_lo, s35
	s_delay_alu instid0(SALU_CYCLE_1)
	s_and_saveexec_b32 s36, s35
	s_cbranch_execz .LBB16_11
; %bb.10:                               ;   in Loop: Header=BB16_3 Depth=1
	v_lshl_add_u64 v[2:3], v[2:3], 1, s[28:29]
	s_wait_loadcnt 0x0
	global_load_u16 v5, v[2:3], off
.LBB16_11:                              ;   in Loop: Header=BB16_3 Depth=1
	s_wait_xcnt 0x0
	s_or_b32 exec_lo, exec_lo, s36
	v_mad_nc_u64_u32 v[2:3], s14, s22, v[0:1]
	s_delay_alu instid0(VALU_DEP_1) | instskip(NEXT) | instid1(VALU_DEP_1)
	v_mad_nc_u64_u32 v[10:11], v2, s20, s[30:31]
	v_mad_u32 v11, v3, s20, v11
	s_delay_alu instid0(VALU_DEP_1)
	v_lshl_add_u64 v[2:3], v[10:11], 1, s[0:1]
	s_and_saveexec_b32 s14, s13
	s_cbranch_execnz .LBB16_15
; %bb.12:                               ;   in Loop: Header=BB16_3 Depth=1
	s_or_b32 exec_lo, exec_lo, s14
	s_and_saveexec_b32 s13, s33
	s_cbranch_execnz .LBB16_16
.LBB16_13:                              ;   in Loop: Header=BB16_3 Depth=1
	s_or_b32 exec_lo, exec_lo, s13
	s_and_saveexec_b32 s13, s34
	s_cbranch_execnz .LBB16_17
.LBB16_14:                              ;   in Loop: Header=BB16_3 Depth=1
	s_or_b32 exec_lo, exec_lo, s13
	s_and_saveexec_b32 s13, s35
	s_cbranch_execz .LBB16_2
	s_branch .LBB16_18
.LBB16_15:                              ;   in Loop: Header=BB16_3 Depth=1
	s_wait_loadcnt 0x0
	global_store_b16 v[2:3], v8, off
	s_wait_xcnt 0x0
	s_or_b32 exec_lo, exec_lo, s14
	s_and_saveexec_b32 s13, s33
	s_cbranch_execz .LBB16_13
.LBB16_16:                              ;   in Loop: Header=BB16_3 Depth=1
	s_wait_loadcnt 0x0
	global_store_b16 v[2:3], v7, off offset:2
	s_wait_xcnt 0x0
	s_or_b32 exec_lo, exec_lo, s13
	s_and_saveexec_b32 s13, s34
	s_cbranch_execz .LBB16_14
.LBB16_17:                              ;   in Loop: Header=BB16_3 Depth=1
	s_wait_loadcnt 0x0
	global_store_b16 v[2:3], v6, off offset:4
	s_wait_xcnt 0x0
	s_or_b32 exec_lo, exec_lo, s13
	s_and_saveexec_b32 s13, s35
	s_cbranch_execz .LBB16_2
.LBB16_18:                              ;   in Loop: Header=BB16_3 Depth=1
	s_wait_loadcnt 0x0
	global_store_b16 v[2:3], v5, off offset:6
	s_branch .LBB16_2
.LBB16_19:
	s_endpgm
	.section	.rodata,"a",@progbits
	.p2align	6, 0x0
	.amdhsa_kernel batched_transpose_256x4_half
		.amdhsa_group_segment_fixed_size 0
		.amdhsa_private_segment_fixed_size 0
		.amdhsa_kernarg_size 48
		.amdhsa_user_sgpr_count 2
		.amdhsa_user_sgpr_dispatch_ptr 0
		.amdhsa_user_sgpr_queue_ptr 0
		.amdhsa_user_sgpr_kernarg_segment_ptr 1
		.amdhsa_user_sgpr_dispatch_id 0
		.amdhsa_user_sgpr_kernarg_preload_length 0
		.amdhsa_user_sgpr_kernarg_preload_offset 0
		.amdhsa_user_sgpr_private_segment_size 0
		.amdhsa_wavefront_size32 1
		.amdhsa_uses_dynamic_stack 0
		.amdhsa_enable_private_segment 0
		.amdhsa_system_sgpr_workgroup_id_x 1
		.amdhsa_system_sgpr_workgroup_id_y 0
		.amdhsa_system_sgpr_workgroup_id_z 0
		.amdhsa_system_sgpr_workgroup_info 0
		.amdhsa_system_vgpr_workitem_id 0
		.amdhsa_next_free_vgpr 12
		.amdhsa_next_free_sgpr 37
		.amdhsa_named_barrier_count 0
		.amdhsa_reserve_vcc 1
		.amdhsa_float_round_mode_32 0
		.amdhsa_float_round_mode_16_64 0
		.amdhsa_float_denorm_mode_32 3
		.amdhsa_float_denorm_mode_16_64 3
		.amdhsa_fp16_overflow 0
		.amdhsa_memory_ordered 1
		.amdhsa_forward_progress 1
		.amdhsa_inst_pref_size 7
		.amdhsa_round_robin_scheduling 0
		.amdhsa_exception_fp_ieee_invalid_op 0
		.amdhsa_exception_fp_denorm_src 0
		.amdhsa_exception_fp_ieee_div_zero 0
		.amdhsa_exception_fp_ieee_overflow 0
		.amdhsa_exception_fp_ieee_underflow 0
		.amdhsa_exception_fp_ieee_inexact 0
		.amdhsa_exception_int_div_zero 0
	.end_amdhsa_kernel
	.text
.Lfunc_end16:
	.size	batched_transpose_256x4_half, .Lfunc_end16-batched_transpose_256x4_half
                                        ; -- End function
	.set batched_transpose_256x4_half.num_vgpr, 12
	.set batched_transpose_256x4_half.num_agpr, 0
	.set batched_transpose_256x4_half.numbered_sgpr, 37
	.set batched_transpose_256x4_half.num_named_barrier, 0
	.set batched_transpose_256x4_half.private_seg_size, 0
	.set batched_transpose_256x4_half.uses_vcc, 1
	.set batched_transpose_256x4_half.uses_flat_scratch, 0
	.set batched_transpose_256x4_half.has_dyn_sized_stack, 0
	.set batched_transpose_256x4_half.has_recursion, 0
	.set batched_transpose_256x4_half.has_indirect_call, 0
	.section	.AMDGPU.csdata,"",@progbits
; Kernel info:
; codeLenInByte = 772
; TotalNumSgprs: 39
; NumVgprs: 12
; ScratchSize: 0
; MemoryBound: 0
; FloatMode: 240
; IeeeMode: 1
; LDSByteSize: 0 bytes/workgroup (compile time only)
; SGPRBlocks: 0
; VGPRBlocks: 0
; NumSGPRsForWavesPerEU: 39
; NumVGPRsForWavesPerEU: 12
; NamedBarCnt: 0
; Occupancy: 16
; WaveLimiterHint : 0
; COMPUTE_PGM_RSRC2:SCRATCH_EN: 0
; COMPUTE_PGM_RSRC2:USER_SGPR: 2
; COMPUTE_PGM_RSRC2:TRAP_HANDLER: 0
; COMPUTE_PGM_RSRC2:TGID_X_EN: 1
; COMPUTE_PGM_RSRC2:TGID_Y_EN: 0
; COMPUTE_PGM_RSRC2:TGID_Z_EN: 0
; COMPUTE_PGM_RSRC2:TIDIG_COMP_CNT: 0
	.text
	.protected	batched_transpose_256x4_byte ; -- Begin function batched_transpose_256x4_byte
	.globl	batched_transpose_256x4_byte
	.p2align	8
	.type	batched_transpose_256x4_byte,@function
batched_transpose_256x4_byte:           ; @batched_transpose_256x4_byte
; %bb.0:
	s_load_b256 s[4:11], s[0:1], 0x10
	s_bfe_u32 s2, ttmp6, 0x4000c
	s_and_b32 s3, ttmp6, 15
	s_add_co_i32 s2, s2, 1
	s_getreg_b32 s12, hwreg(HW_REG_IB_STS2, 6, 4)
	s_mul_i32 s2, ttmp9, s2
	s_mov_b32 s15, 0
	s_add_co_i32 s3, s3, s2
	s_cmp_eq_u32 s12, 0
	s_cselect_b32 s12, ttmp9, s3
	s_wait_kmcnt 0x0
	s_cmp_ge_u32 s12, s7
	s_cbranch_scc1 .LBB17_19
; %bb.1:
	s_load_b128 s[0:3], s[0:1], 0x0
	s_add_co_i32 s24, s5, 0xff
	s_lshl_b32 s14, s5, 1
	v_lshl_or_b32 v4, s12, 8, v0
	v_mov_b32_e32 v1, 0
	s_add_co_i32 s13, s4, 3
	s_mov_b32 s16, s10
	s_mov_b32 s22, s5
	;; [unrolled: 1-line block ×3, first 2 shown]
	s_and_b32 s10, s24, 0xffffff00
	s_mov_b32 s17, s15
	s_mov_b32 s18, s8
	;; [unrolled: 1-line block ×5, first 2 shown]
	s_lshr_b32 s8, s13, 2
	s_sub_co_i32 s10, 0, s10
                                        ; implicit-def: $vgpr5
                                        ; implicit-def: $vgpr6
                                        ; implicit-def: $vgpr7
                                        ; implicit-def: $vgpr8
	s_wait_kmcnt 0x0
	s_add_nc_u64 s[24:25], s[2:3], s[14:15]
	s_mul_i32 s14, s5, 3
	s_add_nc_u64 s[26:27], s[2:3], s[22:23]
	s_add_nc_u64 s[28:29], s[2:3], s[14:15]
	s_lshl_b32 s23, s6, 8
	s_branch .LBB17_3
.LBB17_2:                               ;   in Loop: Header=BB17_3 Depth=1
	s_wait_xcnt 0x0
	s_or_b32 exec_lo, exec_lo, s13
	v_add_nc_u32_e32 v4, s23, v4
	s_add_co_i32 s12, s12, s6
	s_delay_alu instid0(SALU_CYCLE_1)
	s_cmp_lt_u32 s12, s7
	s_cbranch_scc0 .LBB17_19
.LBB17_3:                               ; =>This Inner Loop Header: Depth=1
	s_mov_b32 s13, s15
	s_delay_alu instid0(SALU_CYCLE_1) | instskip(NEXT) | instid1(SALU_CYCLE_1)
	s_mul_u64 s[30:31], s[16:17], s[12:13]
	s_add_co_i32 s13, s12, s31
	s_delay_alu instid0(SALU_CYCLE_1) | instskip(NEXT) | instid1(SALU_CYCLE_1)
	s_lshr_b32 s14, s13, s11
	s_mul_u64 s[30:31], s[14:15], s[18:19]
	v_mad_u32 v0, s10, s14, v4
	s_add_co_i32 s13, s14, s31
	s_mov_b32 s31, s15
	s_lshr_b32 s13, s13, s9
	s_delay_alu instid0(SALU_CYCLE_1) | instskip(NEXT) | instid1(SALU_CYCLE_1)
	s_mul_i32 s30, s13, s8
	s_sub_co_i32 s30, s14, s30
	s_mov_b32 s14, s13
	s_lshl_b32 s30, s30, 2
	s_mul_u64 s[34:35], s[14:15], s[20:21]
	s_delay_alu instid0(VALU_DEP_1) | instskip(SKIP_4) | instid1(SALU_CYCLE_1)
	v_cmp_gt_u32_e32 vcc_lo, s5, v0
	s_add_nc_u64 s[34:35], s[34:35], s[30:31]
	s_cmp_lt_u32 s30, s4
	v_mad_nc_u64_u32 v[2:3], s34, s22, v[0:1]
	s_cselect_b32 s13, -1, 0
	s_and_b32 s13, vcc_lo, s13
	s_delay_alu instid0(VALU_DEP_1)
	v_mad_u32 v3, s35, s22, v3
	s_and_saveexec_b32 s33, s13
	s_cbranch_execz .LBB17_5
; %bb.4:                                ;   in Loop: Header=BB17_3 Depth=1
	s_wait_loadcnt 0x0
	s_delay_alu instid0(VALU_DEP_1)
	v_add_nc_u64_e32 v[8:9], s[2:3], v[2:3]
	global_load_u8 v8, v[8:9], off
.LBB17_5:                               ;   in Loop: Header=BB17_3 Depth=1
	s_wait_xcnt 0x0
	s_or_b32 exec_lo, exec_lo, s33
	s_or_b32 s33, s30, 1
	s_delay_alu instid0(SALU_CYCLE_1) | instskip(SKIP_1) | instid1(SALU_CYCLE_1)
	s_cmp_lt_u32 s33, s4
	s_cselect_b32 s33, -1, 0
	s_and_b32 s33, vcc_lo, s33
	s_delay_alu instid0(SALU_CYCLE_1)
	s_and_saveexec_b32 s34, s33
	s_cbranch_execz .LBB17_7
; %bb.6:                                ;   in Loop: Header=BB17_3 Depth=1
	v_add_nc_u64_e32 v[10:11], s[26:27], v[2:3]
	s_wait_loadcnt 0x0
	global_load_u8 v7, v[10:11], off
.LBB17_7:                               ;   in Loop: Header=BB17_3 Depth=1
	s_wait_xcnt 0x0
	s_or_b32 exec_lo, exec_lo, s34
	s_or_b32 s34, s30, 2
	s_delay_alu instid0(SALU_CYCLE_1) | instskip(SKIP_1) | instid1(SALU_CYCLE_1)
	s_cmp_lt_u32 s34, s4
	s_cselect_b32 s34, -1, 0
	s_and_b32 s34, vcc_lo, s34
	s_delay_alu instid0(SALU_CYCLE_1)
	s_and_saveexec_b32 s35, s34
	s_cbranch_execz .LBB17_9
; %bb.8:                                ;   in Loop: Header=BB17_3 Depth=1
	v_add_nc_u64_e32 v[10:11], s[24:25], v[2:3]
	s_wait_loadcnt 0x0
	global_load_u8 v6, v[10:11], off
.LBB17_9:                               ;   in Loop: Header=BB17_3 Depth=1
	s_wait_xcnt 0x0
	s_or_b32 exec_lo, exec_lo, s35
	s_or_b32 s35, s30, 3
	s_delay_alu instid0(SALU_CYCLE_1) | instskip(SKIP_1) | instid1(SALU_CYCLE_1)
	s_cmp_lt_u32 s35, s4
	s_cselect_b32 s35, -1, 0
	s_and_b32 s35, vcc_lo, s35
	s_delay_alu instid0(SALU_CYCLE_1)
	s_and_saveexec_b32 s36, s35
	s_cbranch_execz .LBB17_11
; %bb.10:                               ;   in Loop: Header=BB17_3 Depth=1
	v_add_nc_u64_e32 v[2:3], s[28:29], v[2:3]
	s_wait_loadcnt 0x0
	global_load_u8 v5, v[2:3], off
.LBB17_11:                              ;   in Loop: Header=BB17_3 Depth=1
	s_wait_xcnt 0x0
	s_or_b32 exec_lo, exec_lo, s36
	v_mad_nc_u64_u32 v[2:3], s14, s22, v[0:1]
	s_delay_alu instid0(VALU_DEP_1) | instskip(NEXT) | instid1(VALU_DEP_1)
	v_mad_nc_u64_u32 v[10:11], v2, s20, s[30:31]
	v_mad_u32 v11, v3, s20, v11
	s_delay_alu instid0(VALU_DEP_1)
	v_add_nc_u64_e32 v[2:3], s[0:1], v[10:11]
	s_and_saveexec_b32 s14, s13
	s_cbranch_execnz .LBB17_15
; %bb.12:                               ;   in Loop: Header=BB17_3 Depth=1
	s_or_b32 exec_lo, exec_lo, s14
	s_and_saveexec_b32 s13, s33
	s_cbranch_execnz .LBB17_16
.LBB17_13:                              ;   in Loop: Header=BB17_3 Depth=1
	s_or_b32 exec_lo, exec_lo, s13
	s_and_saveexec_b32 s13, s34
	s_cbranch_execnz .LBB17_17
.LBB17_14:                              ;   in Loop: Header=BB17_3 Depth=1
	s_or_b32 exec_lo, exec_lo, s13
	s_and_saveexec_b32 s13, s35
	s_cbranch_execz .LBB17_2
	s_branch .LBB17_18
.LBB17_15:                              ;   in Loop: Header=BB17_3 Depth=1
	s_wait_loadcnt 0x0
	global_store_b8 v[2:3], v8, off
	s_wait_xcnt 0x0
	s_or_b32 exec_lo, exec_lo, s14
	s_and_saveexec_b32 s13, s33
	s_cbranch_execz .LBB17_13
.LBB17_16:                              ;   in Loop: Header=BB17_3 Depth=1
	s_wait_loadcnt 0x0
	global_store_b8 v[2:3], v7, off offset:1
	s_wait_xcnt 0x0
	s_or_b32 exec_lo, exec_lo, s13
	s_and_saveexec_b32 s13, s34
	s_cbranch_execz .LBB17_14
.LBB17_17:                              ;   in Loop: Header=BB17_3 Depth=1
	s_wait_loadcnt 0x0
	global_store_b8 v[2:3], v6, off offset:2
	s_wait_xcnt 0x0
	s_or_b32 exec_lo, exec_lo, s13
	s_and_saveexec_b32 s13, s35
	s_cbranch_execz .LBB17_2
.LBB17_18:                              ;   in Loop: Header=BB17_3 Depth=1
	s_wait_loadcnt 0x0
	global_store_b8 v[2:3], v5, off offset:3
	s_branch .LBB17_2
.LBB17_19:
	s_endpgm
	.section	.rodata,"a",@progbits
	.p2align	6, 0x0
	.amdhsa_kernel batched_transpose_256x4_byte
		.amdhsa_group_segment_fixed_size 0
		.amdhsa_private_segment_fixed_size 0
		.amdhsa_kernarg_size 48
		.amdhsa_user_sgpr_count 2
		.amdhsa_user_sgpr_dispatch_ptr 0
		.amdhsa_user_sgpr_queue_ptr 0
		.amdhsa_user_sgpr_kernarg_segment_ptr 1
		.amdhsa_user_sgpr_dispatch_id 0
		.amdhsa_user_sgpr_kernarg_preload_length 0
		.amdhsa_user_sgpr_kernarg_preload_offset 0
		.amdhsa_user_sgpr_private_segment_size 0
		.amdhsa_wavefront_size32 1
		.amdhsa_uses_dynamic_stack 0
		.amdhsa_enable_private_segment 0
		.amdhsa_system_sgpr_workgroup_id_x 1
		.amdhsa_system_sgpr_workgroup_id_y 0
		.amdhsa_system_sgpr_workgroup_id_z 0
		.amdhsa_system_sgpr_workgroup_info 0
		.amdhsa_system_vgpr_workitem_id 0
		.amdhsa_next_free_vgpr 12
		.amdhsa_next_free_sgpr 37
		.amdhsa_named_barrier_count 0
		.amdhsa_reserve_vcc 1
		.amdhsa_float_round_mode_32 0
		.amdhsa_float_round_mode_16_64 0
		.amdhsa_float_denorm_mode_32 3
		.amdhsa_float_denorm_mode_16_64 3
		.amdhsa_fp16_overflow 0
		.amdhsa_memory_ordered 1
		.amdhsa_forward_progress 1
		.amdhsa_inst_pref_size 6
		.amdhsa_round_robin_scheduling 0
		.amdhsa_exception_fp_ieee_invalid_op 0
		.amdhsa_exception_fp_denorm_src 0
		.amdhsa_exception_fp_ieee_div_zero 0
		.amdhsa_exception_fp_ieee_overflow 0
		.amdhsa_exception_fp_ieee_underflow 0
		.amdhsa_exception_fp_ieee_inexact 0
		.amdhsa_exception_int_div_zero 0
	.end_amdhsa_kernel
	.text
.Lfunc_end17:
	.size	batched_transpose_256x4_byte, .Lfunc_end17-batched_transpose_256x4_byte
                                        ; -- End function
	.set batched_transpose_256x4_byte.num_vgpr, 12
	.set batched_transpose_256x4_byte.num_agpr, 0
	.set batched_transpose_256x4_byte.numbered_sgpr, 37
	.set batched_transpose_256x4_byte.num_named_barrier, 0
	.set batched_transpose_256x4_byte.private_seg_size, 0
	.set batched_transpose_256x4_byte.uses_vcc, 1
	.set batched_transpose_256x4_byte.uses_flat_scratch, 0
	.set batched_transpose_256x4_byte.has_dyn_sized_stack, 0
	.set batched_transpose_256x4_byte.has_recursion, 0
	.set batched_transpose_256x4_byte.has_indirect_call, 0
	.section	.AMDGPU.csdata,"",@progbits
; Kernel info:
; codeLenInByte = 740
; TotalNumSgprs: 39
; NumVgprs: 12
; ScratchSize: 0
; MemoryBound: 0
; FloatMode: 240
; IeeeMode: 1
; LDSByteSize: 0 bytes/workgroup (compile time only)
; SGPRBlocks: 0
; VGPRBlocks: 0
; NumSGPRsForWavesPerEU: 39
; NumVGPRsForWavesPerEU: 12
; NamedBarCnt: 0
; Occupancy: 16
; WaveLimiterHint : 0
; COMPUTE_PGM_RSRC2:SCRATCH_EN: 0
; COMPUTE_PGM_RSRC2:USER_SGPR: 2
; COMPUTE_PGM_RSRC2:TRAP_HANDLER: 0
; COMPUTE_PGM_RSRC2:TGID_X_EN: 1
; COMPUTE_PGM_RSRC2:TGID_Y_EN: 0
; COMPUTE_PGM_RSRC2:TGID_Z_EN: 0
; COMPUTE_PGM_RSRC2:TIDIG_COMP_CNT: 0
	.text
	.protected	batched_transpose_4x128_dword ; -- Begin function batched_transpose_4x128_dword
	.globl	batched_transpose_4x128_dword
	.p2align	8
	.type	batched_transpose_4x128_dword,@function
batched_transpose_4x128_dword:          ; @batched_transpose_4x128_dword
; %bb.0:
	s_load_b256 s[4:11], s[0:1], 0x10
	s_bfe_u32 s2, ttmp6, 0x4000c
	s_and_b32 s3, ttmp6, 15
	s_add_co_i32 s2, s2, 1
	s_getreg_b32 s12, hwreg(HW_REG_IB_STS2, 6, 4)
	s_mul_i32 s2, ttmp9, s2
	s_delay_alu instid0(SALU_CYCLE_1)
	s_add_co_i32 s3, s3, s2
	s_cmp_eq_u32 s12, 0
	s_cselect_b32 s2, ttmp9, s3
	s_mov_b32 s3, 0
	s_wait_kmcnt 0x0
	s_cmp_ge_u32 s2, s7
	s_cbranch_scc1 .LBB18_11
; %bb.1:
	s_load_b128 s[12:15], s[0:1], 0x0
	v_dual_mov_b32 v1, 0 :: v_dual_lshrrev_b32 v2, 7, v0
	s_wait_xcnt 0x0
	s_add_co_i32 s0, s4, 0x7f
	s_add_co_i32 s22, s5, 3
	s_lshl_b32 s20, s4, 1
	s_mov_b32 s21, s3
	v_and_b32_e32 v6, 0x7f, v0
	v_lshl_or_b32 v7, s2, 2, v2
	s_mov_b32 s18, s8
	s_lshr_b32 s8, s0, 7
	s_lshl_b64 s[20:21], s[20:21], 2
	s_and_b32 s0, s22, -4
	s_mov_b32 s16, s10
	s_mov_b32 s17, s3
	;; [unrolled: 1-line block ×4, first 2 shown]
	s_sub_co_i32 s10, 0, s0
	s_lshl_b32 s22, s6, 2
                                        ; implicit-def: $vgpr8
                                        ; implicit-def: $vgpr9
	s_wait_kmcnt 0x0
	s_add_nc_u64 s[20:21], s[12:13], s[20:21]
	s_branch .LBB18_3
.LBB18_2:                               ;   in Loop: Header=BB18_3 Depth=1
	s_wait_xcnt 0x0
	s_or_b32 exec_lo, exec_lo, s23
	v_add_nc_u32_e32 v7, s22, v7
	s_add_co_i32 s2, s2, s6
	s_delay_alu instid0(SALU_CYCLE_1)
	s_cmp_lt_u32 s2, s7
	s_cbranch_scc0 .LBB18_11
.LBB18_3:                               ; =>This Inner Loop Header: Depth=1
	s_mul_u64 s[24:25], s[16:17], s[2:3]
	v_mov_b32_e32 v3, v1
	s_add_co_i32 s0, s2, s25
	s_mov_b32 s25, s3
	s_lshr_b32 s24, s0, s11
	s_delay_alu instid0(SALU_CYCLE_1) | instskip(SKIP_2) | instid1(SALU_CYCLE_1)
	s_mul_u64 s[26:27], s[24:25], s[18:19]
	v_mad_u32 v2, s10, s24, v7
	s_add_co_i32 s0, s24, s27
	s_lshr_b32 s23, s0, s9
	s_delay_alu instid0(SALU_CYCLE_1) | instskip(NEXT) | instid1(SALU_CYCLE_1)
	s_mul_i32 s0, s23, s8
	s_sub_co_i32 s0, s24, s0
	s_delay_alu instid0(SALU_CYCLE_1) | instskip(NEXT) | instid1(VALU_DEP_2)
	v_lshl_or_b32 v0, s0, 7, v6
	v_cmp_gt_u32_e64 s0, s5, v2
	s_delay_alu instid0(VALU_DEP_2) | instskip(SKIP_2) | instid1(VALU_DEP_2)
	v_mad_nc_u64_u32 v[4:5], s23, s4, v[0:1]
	v_cmp_gt_u32_e32 vcc_lo, s4, v0
	s_and_b32 s24, s0, vcc_lo
	v_mad_nc_u64_u32 v[10:11], v4, s1, v[2:3]
	s_delay_alu instid0(VALU_DEP_1) | instskip(NEXT) | instid1(VALU_DEP_1)
	v_mad_u32 v11, v5, s1, v11
	v_lshl_add_u64 v[4:5], v[10:11], 2, s[14:15]
	s_and_saveexec_b32 s0, s24
	s_cbranch_execz .LBB18_5
; %bb.4:                                ;   in Loop: Header=BB18_3 Depth=1
	s_wait_loadcnt 0x0
	global_load_b32 v9, v[4:5], off
.LBB18_5:                               ;   in Loop: Header=BB18_3 Depth=1
	s_wait_xcnt 0x0
	s_or_b32 exec_lo, exec_lo, s0
	v_add_nc_u32_e32 v10, 2, v2
	s_delay_alu instid0(VALU_DEP_1) | instskip(SKIP_1) | instid1(SALU_CYCLE_1)
	v_cmp_gt_u32_e64 s0, s5, v10
	s_and_b32 s0, s0, vcc_lo
	s_and_saveexec_b32 s25, s0
	s_cbranch_execz .LBB18_7
; %bb.6:                                ;   in Loop: Header=BB18_3 Depth=1
	s_wait_loadcnt 0x0
	global_load_b32 v8, v[4:5], off offset:8
.LBB18_7:                               ;   in Loop: Header=BB18_3 Depth=1
	s_wait_xcnt 0x0
	s_or_b32 exec_lo, exec_lo, s25
	v_mad_nc_u64_u32 v[4:5], s23, s1, v[2:3]
	s_delay_alu instid0(VALU_DEP_1) | instskip(NEXT) | instid1(VALU_DEP_1)
	v_mad_nc_u64_u32 v[2:3], v4, s4, v[0:1]
	v_mad_u32 v3, v5, s4, v3
	s_and_saveexec_b32 s23, s24
	s_cbranch_execz .LBB18_9
; %bb.8:                                ;   in Loop: Header=BB18_3 Depth=1
	s_delay_alu instid0(VALU_DEP_1)
	v_lshl_add_u64 v[4:5], v[2:3], 2, s[12:13]
	s_wait_loadcnt 0x0
	global_store_b32 v[4:5], v9, off
.LBB18_9:                               ;   in Loop: Header=BB18_3 Depth=1
	s_wait_xcnt 0x0
	s_or_b32 exec_lo, exec_lo, s23
	s_and_saveexec_b32 s23, s0
	s_cbranch_execz .LBB18_2
; %bb.10:                               ;   in Loop: Header=BB18_3 Depth=1
	s_delay_alu instid0(VALU_DEP_1)
	v_lshl_add_u64 v[2:3], v[2:3], 2, s[20:21]
	s_wait_loadcnt 0x0
	global_store_b32 v[2:3], v8, off
	s_branch .LBB18_2
.LBB18_11:
	s_endpgm
	.section	.rodata,"a",@progbits
	.p2align	6, 0x0
	.amdhsa_kernel batched_transpose_4x128_dword
		.amdhsa_group_segment_fixed_size 0
		.amdhsa_private_segment_fixed_size 0
		.amdhsa_kernarg_size 48
		.amdhsa_user_sgpr_count 2
		.amdhsa_user_sgpr_dispatch_ptr 0
		.amdhsa_user_sgpr_queue_ptr 0
		.amdhsa_user_sgpr_kernarg_segment_ptr 1
		.amdhsa_user_sgpr_dispatch_id 0
		.amdhsa_user_sgpr_kernarg_preload_length 0
		.amdhsa_user_sgpr_kernarg_preload_offset 0
		.amdhsa_user_sgpr_private_segment_size 0
		.amdhsa_wavefront_size32 1
		.amdhsa_uses_dynamic_stack 0
		.amdhsa_enable_private_segment 0
		.amdhsa_system_sgpr_workgroup_id_x 1
		.amdhsa_system_sgpr_workgroup_id_y 0
		.amdhsa_system_sgpr_workgroup_id_z 0
		.amdhsa_system_sgpr_workgroup_info 0
		.amdhsa_system_vgpr_workitem_id 0
		.amdhsa_next_free_vgpr 12
		.amdhsa_next_free_sgpr 28
		.amdhsa_named_barrier_count 0
		.amdhsa_reserve_vcc 1
		.amdhsa_float_round_mode_32 0
		.amdhsa_float_round_mode_16_64 0
		.amdhsa_float_denorm_mode_32 3
		.amdhsa_float_denorm_mode_16_64 3
		.amdhsa_fp16_overflow 0
		.amdhsa_memory_ordered 1
		.amdhsa_forward_progress 1
		.amdhsa_inst_pref_size 5
		.amdhsa_round_robin_scheduling 0
		.amdhsa_exception_fp_ieee_invalid_op 0
		.amdhsa_exception_fp_denorm_src 0
		.amdhsa_exception_fp_ieee_div_zero 0
		.amdhsa_exception_fp_ieee_overflow 0
		.amdhsa_exception_fp_ieee_underflow 0
		.amdhsa_exception_fp_ieee_inexact 0
		.amdhsa_exception_int_div_zero 0
	.end_amdhsa_kernel
	.text
.Lfunc_end18:
	.size	batched_transpose_4x128_dword, .Lfunc_end18-batched_transpose_4x128_dword
                                        ; -- End function
	.set batched_transpose_4x128_dword.num_vgpr, 12
	.set batched_transpose_4x128_dword.num_agpr, 0
	.set batched_transpose_4x128_dword.numbered_sgpr, 28
	.set batched_transpose_4x128_dword.num_named_barrier, 0
	.set batched_transpose_4x128_dword.private_seg_size, 0
	.set batched_transpose_4x128_dword.uses_vcc, 1
	.set batched_transpose_4x128_dword.uses_flat_scratch, 0
	.set batched_transpose_4x128_dword.has_dyn_sized_stack, 0
	.set batched_transpose_4x128_dword.has_recursion, 0
	.set batched_transpose_4x128_dword.has_indirect_call, 0
	.section	.AMDGPU.csdata,"",@progbits
; Kernel info:
; codeLenInByte = 524
; TotalNumSgprs: 30
; NumVgprs: 12
; ScratchSize: 0
; MemoryBound: 0
; FloatMode: 240
; IeeeMode: 1
; LDSByteSize: 0 bytes/workgroup (compile time only)
; SGPRBlocks: 0
; VGPRBlocks: 0
; NumSGPRsForWavesPerEU: 30
; NumVGPRsForWavesPerEU: 12
; NamedBarCnt: 0
; Occupancy: 16
; WaveLimiterHint : 0
; COMPUTE_PGM_RSRC2:SCRATCH_EN: 0
; COMPUTE_PGM_RSRC2:USER_SGPR: 2
; COMPUTE_PGM_RSRC2:TRAP_HANDLER: 0
; COMPUTE_PGM_RSRC2:TGID_X_EN: 1
; COMPUTE_PGM_RSRC2:TGID_Y_EN: 0
; COMPUTE_PGM_RSRC2:TGID_Z_EN: 0
; COMPUTE_PGM_RSRC2:TIDIG_COMP_CNT: 0
	.text
	.protected	batched_transpose_4x128_half ; -- Begin function batched_transpose_4x128_half
	.globl	batched_transpose_4x128_half
	.p2align	8
	.type	batched_transpose_4x128_half,@function
batched_transpose_4x128_half:           ; @batched_transpose_4x128_half
; %bb.0:
	s_load_b256 s[4:11], s[0:1], 0x10
	s_bfe_u32 s2, ttmp6, 0x4000c
	s_and_b32 s3, ttmp6, 15
	s_add_co_i32 s2, s2, 1
	s_getreg_b32 s12, hwreg(HW_REG_IB_STS2, 6, 4)
	s_mul_i32 s2, ttmp9, s2
	s_delay_alu instid0(SALU_CYCLE_1)
	s_add_co_i32 s3, s3, s2
	s_cmp_eq_u32 s12, 0
	s_cselect_b32 s2, ttmp9, s3
	s_mov_b32 s3, 0
	s_wait_kmcnt 0x0
	s_cmp_ge_u32 s2, s7
	s_cbranch_scc1 .LBB19_11
; %bb.1:
	s_load_b128 s[12:15], s[0:1], 0x0
	v_dual_mov_b32 v1, 0 :: v_dual_lshrrev_b32 v2, 7, v0
	s_wait_xcnt 0x0
	s_add_co_i32 s0, s4, 0x7f
	s_add_co_i32 s22, s5, 3
	s_lshl_b32 s20, s4, 1
	s_mov_b32 s21, s3
	v_and_b32_e32 v6, 0x7f, v0
	v_lshl_or_b32 v7, s2, 2, v2
	s_mov_b32 s18, s8
	s_lshr_b32 s8, s0, 7
	s_lshl_b64 s[20:21], s[20:21], 1
	s_and_b32 s0, s22, -4
	s_mov_b32 s16, s10
	s_mov_b32 s17, s3
	;; [unrolled: 1-line block ×4, first 2 shown]
	s_sub_co_i32 s10, 0, s0
	s_lshl_b32 s22, s6, 2
                                        ; implicit-def: $vgpr8
                                        ; implicit-def: $vgpr9
	s_wait_kmcnt 0x0
	s_add_nc_u64 s[20:21], s[12:13], s[20:21]
	s_branch .LBB19_3
.LBB19_2:                               ;   in Loop: Header=BB19_3 Depth=1
	s_wait_xcnt 0x0
	s_or_b32 exec_lo, exec_lo, s23
	v_add_nc_u32_e32 v7, s22, v7
	s_add_co_i32 s2, s2, s6
	s_delay_alu instid0(SALU_CYCLE_1)
	s_cmp_lt_u32 s2, s7
	s_cbranch_scc0 .LBB19_11
.LBB19_3:                               ; =>This Inner Loop Header: Depth=1
	s_mul_u64 s[24:25], s[16:17], s[2:3]
	v_mov_b32_e32 v3, v1
	s_add_co_i32 s0, s2, s25
	s_mov_b32 s25, s3
	s_lshr_b32 s24, s0, s11
	s_delay_alu instid0(SALU_CYCLE_1) | instskip(SKIP_2) | instid1(SALU_CYCLE_1)
	s_mul_u64 s[26:27], s[24:25], s[18:19]
	v_mad_u32 v2, s10, s24, v7
	s_add_co_i32 s0, s24, s27
	s_lshr_b32 s23, s0, s9
	s_delay_alu instid0(SALU_CYCLE_1) | instskip(NEXT) | instid1(SALU_CYCLE_1)
	s_mul_i32 s0, s23, s8
	s_sub_co_i32 s0, s24, s0
	s_delay_alu instid0(SALU_CYCLE_1) | instskip(NEXT) | instid1(VALU_DEP_2)
	v_lshl_or_b32 v0, s0, 7, v6
	v_cmp_gt_u32_e64 s0, s5, v2
	s_delay_alu instid0(VALU_DEP_2) | instskip(SKIP_2) | instid1(VALU_DEP_2)
	v_mad_nc_u64_u32 v[4:5], s23, s4, v[0:1]
	v_cmp_gt_u32_e32 vcc_lo, s4, v0
	s_and_b32 s24, s0, vcc_lo
	v_mad_nc_u64_u32 v[10:11], v4, s1, v[2:3]
	s_delay_alu instid0(VALU_DEP_1) | instskip(NEXT) | instid1(VALU_DEP_1)
	v_mad_u32 v11, v5, s1, v11
	v_lshl_add_u64 v[4:5], v[10:11], 1, s[14:15]
	s_and_saveexec_b32 s0, s24
	s_cbranch_execz .LBB19_5
; %bb.4:                                ;   in Loop: Header=BB19_3 Depth=1
	s_wait_loadcnt 0x0
	global_load_u16 v9, v[4:5], off
.LBB19_5:                               ;   in Loop: Header=BB19_3 Depth=1
	s_wait_xcnt 0x0
	s_or_b32 exec_lo, exec_lo, s0
	v_add_nc_u32_e32 v10, 2, v2
	s_delay_alu instid0(VALU_DEP_1) | instskip(SKIP_1) | instid1(SALU_CYCLE_1)
	v_cmp_gt_u32_e64 s0, s5, v10
	s_and_b32 s0, s0, vcc_lo
	s_and_saveexec_b32 s25, s0
	s_cbranch_execz .LBB19_7
; %bb.6:                                ;   in Loop: Header=BB19_3 Depth=1
	s_wait_loadcnt 0x0
	global_load_u16 v8, v[4:5], off offset:4
.LBB19_7:                               ;   in Loop: Header=BB19_3 Depth=1
	s_wait_xcnt 0x0
	s_or_b32 exec_lo, exec_lo, s25
	v_mad_nc_u64_u32 v[4:5], s23, s1, v[2:3]
	s_delay_alu instid0(VALU_DEP_1) | instskip(NEXT) | instid1(VALU_DEP_1)
	v_mad_nc_u64_u32 v[2:3], v4, s4, v[0:1]
	v_mad_u32 v3, v5, s4, v3
	s_and_saveexec_b32 s23, s24
	s_cbranch_execz .LBB19_9
; %bb.8:                                ;   in Loop: Header=BB19_3 Depth=1
	s_delay_alu instid0(VALU_DEP_1)
	v_lshl_add_u64 v[4:5], v[2:3], 1, s[12:13]
	s_wait_loadcnt 0x0
	global_store_b16 v[4:5], v9, off
.LBB19_9:                               ;   in Loop: Header=BB19_3 Depth=1
	s_wait_xcnt 0x0
	s_or_b32 exec_lo, exec_lo, s23
	s_and_saveexec_b32 s23, s0
	s_cbranch_execz .LBB19_2
; %bb.10:                               ;   in Loop: Header=BB19_3 Depth=1
	s_delay_alu instid0(VALU_DEP_1)
	v_lshl_add_u64 v[2:3], v[2:3], 1, s[20:21]
	s_wait_loadcnt 0x0
	global_store_b16 v[2:3], v8, off
	s_branch .LBB19_2
.LBB19_11:
	s_endpgm
	.section	.rodata,"a",@progbits
	.p2align	6, 0x0
	.amdhsa_kernel batched_transpose_4x128_half
		.amdhsa_group_segment_fixed_size 0
		.amdhsa_private_segment_fixed_size 0
		.amdhsa_kernarg_size 48
		.amdhsa_user_sgpr_count 2
		.amdhsa_user_sgpr_dispatch_ptr 0
		.amdhsa_user_sgpr_queue_ptr 0
		.amdhsa_user_sgpr_kernarg_segment_ptr 1
		.amdhsa_user_sgpr_dispatch_id 0
		.amdhsa_user_sgpr_kernarg_preload_length 0
		.amdhsa_user_sgpr_kernarg_preload_offset 0
		.amdhsa_user_sgpr_private_segment_size 0
		.amdhsa_wavefront_size32 1
		.amdhsa_uses_dynamic_stack 0
		.amdhsa_enable_private_segment 0
		.amdhsa_system_sgpr_workgroup_id_x 1
		.amdhsa_system_sgpr_workgroup_id_y 0
		.amdhsa_system_sgpr_workgroup_id_z 0
		.amdhsa_system_sgpr_workgroup_info 0
		.amdhsa_system_vgpr_workitem_id 0
		.amdhsa_next_free_vgpr 12
		.amdhsa_next_free_sgpr 28
		.amdhsa_named_barrier_count 0
		.amdhsa_reserve_vcc 1
		.amdhsa_float_round_mode_32 0
		.amdhsa_float_round_mode_16_64 0
		.amdhsa_float_denorm_mode_32 3
		.amdhsa_float_denorm_mode_16_64 3
		.amdhsa_fp16_overflow 0
		.amdhsa_memory_ordered 1
		.amdhsa_forward_progress 1
		.amdhsa_inst_pref_size 5
		.amdhsa_round_robin_scheduling 0
		.amdhsa_exception_fp_ieee_invalid_op 0
		.amdhsa_exception_fp_denorm_src 0
		.amdhsa_exception_fp_ieee_div_zero 0
		.amdhsa_exception_fp_ieee_overflow 0
		.amdhsa_exception_fp_ieee_underflow 0
		.amdhsa_exception_fp_ieee_inexact 0
		.amdhsa_exception_int_div_zero 0
	.end_amdhsa_kernel
	.text
.Lfunc_end19:
	.size	batched_transpose_4x128_half, .Lfunc_end19-batched_transpose_4x128_half
                                        ; -- End function
	.set batched_transpose_4x128_half.num_vgpr, 12
	.set batched_transpose_4x128_half.num_agpr, 0
	.set batched_transpose_4x128_half.numbered_sgpr, 28
	.set batched_transpose_4x128_half.num_named_barrier, 0
	.set batched_transpose_4x128_half.private_seg_size, 0
	.set batched_transpose_4x128_half.uses_vcc, 1
	.set batched_transpose_4x128_half.uses_flat_scratch, 0
	.set batched_transpose_4x128_half.has_dyn_sized_stack, 0
	.set batched_transpose_4x128_half.has_recursion, 0
	.set batched_transpose_4x128_half.has_indirect_call, 0
	.section	.AMDGPU.csdata,"",@progbits
; Kernel info:
; codeLenInByte = 524
; TotalNumSgprs: 30
; NumVgprs: 12
; ScratchSize: 0
; MemoryBound: 0
; FloatMode: 240
; IeeeMode: 1
; LDSByteSize: 0 bytes/workgroup (compile time only)
; SGPRBlocks: 0
; VGPRBlocks: 0
; NumSGPRsForWavesPerEU: 30
; NumVGPRsForWavesPerEU: 12
; NamedBarCnt: 0
; Occupancy: 16
; WaveLimiterHint : 0
; COMPUTE_PGM_RSRC2:SCRATCH_EN: 0
; COMPUTE_PGM_RSRC2:USER_SGPR: 2
; COMPUTE_PGM_RSRC2:TRAP_HANDLER: 0
; COMPUTE_PGM_RSRC2:TGID_X_EN: 1
; COMPUTE_PGM_RSRC2:TGID_Y_EN: 0
; COMPUTE_PGM_RSRC2:TGID_Z_EN: 0
; COMPUTE_PGM_RSRC2:TIDIG_COMP_CNT: 0
	.text
	.protected	batched_transpose_4x128_byte ; -- Begin function batched_transpose_4x128_byte
	.globl	batched_transpose_4x128_byte
	.p2align	8
	.type	batched_transpose_4x128_byte,@function
batched_transpose_4x128_byte:           ; @batched_transpose_4x128_byte
; %bb.0:
	s_load_b256 s[4:11], s[0:1], 0x10
	s_bfe_u32 s2, ttmp6, 0x4000c
	s_and_b32 s3, ttmp6, 15
	s_add_co_i32 s2, s2, 1
	s_getreg_b32 s12, hwreg(HW_REG_IB_STS2, 6, 4)
	s_mul_i32 s2, ttmp9, s2
	s_delay_alu instid0(SALU_CYCLE_1)
	s_add_co_i32 s3, s3, s2
	s_cmp_eq_u32 s12, 0
	s_cselect_b32 s2, ttmp9, s3
	s_mov_b32 s3, 0
	s_wait_kmcnt 0x0
	s_cmp_ge_u32 s2, s7
	s_cbranch_scc1 .LBB20_11
; %bb.1:
	s_load_b128 s[12:15], s[0:1], 0x0
	v_dual_mov_b32 v1, 0 :: v_dual_lshrrev_b32 v2, 7, v0
	s_wait_xcnt 0x0
	s_add_co_i32 s0, s4, 0x7f
	s_add_co_i32 s22, s5, 3
	v_and_b32_e32 v6, 0x7f, v0
	v_lshl_or_b32 v7, s2, 2, v2
	s_mov_b32 s18, s8
	s_lshl_b32 s20, s4, 1
	s_mov_b32 s21, s3
	s_lshr_b32 s8, s0, 7
	s_and_b32 s0, s22, -4
	s_mov_b32 s16, s10
	s_mov_b32 s17, s3
	;; [unrolled: 1-line block ×4, first 2 shown]
	s_sub_co_i32 s10, 0, s0
	s_lshl_b32 s22, s6, 2
                                        ; implicit-def: $vgpr8
                                        ; implicit-def: $vgpr9
	s_wait_kmcnt 0x0
	s_add_nc_u64 s[20:21], s[12:13], s[20:21]
	s_branch .LBB20_3
.LBB20_2:                               ;   in Loop: Header=BB20_3 Depth=1
	s_wait_xcnt 0x0
	s_or_b32 exec_lo, exec_lo, s23
	v_add_nc_u32_e32 v7, s22, v7
	s_add_co_i32 s2, s2, s6
	s_delay_alu instid0(SALU_CYCLE_1)
	s_cmp_lt_u32 s2, s7
	s_cbranch_scc0 .LBB20_11
.LBB20_3:                               ; =>This Inner Loop Header: Depth=1
	s_mul_u64 s[24:25], s[16:17], s[2:3]
	v_mov_b32_e32 v3, v1
	s_add_co_i32 s0, s2, s25
	s_mov_b32 s25, s3
	s_lshr_b32 s24, s0, s11
	s_delay_alu instid0(SALU_CYCLE_1) | instskip(SKIP_2) | instid1(SALU_CYCLE_1)
	s_mul_u64 s[26:27], s[24:25], s[18:19]
	v_mad_u32 v2, s10, s24, v7
	s_add_co_i32 s0, s24, s27
	s_lshr_b32 s23, s0, s9
	s_delay_alu instid0(SALU_CYCLE_1) | instskip(NEXT) | instid1(SALU_CYCLE_1)
	s_mul_i32 s0, s23, s8
	s_sub_co_i32 s0, s24, s0
	s_delay_alu instid0(SALU_CYCLE_1) | instskip(NEXT) | instid1(VALU_DEP_2)
	v_lshl_or_b32 v0, s0, 7, v6
	v_cmp_gt_u32_e64 s0, s5, v2
	s_delay_alu instid0(VALU_DEP_2) | instskip(SKIP_2) | instid1(VALU_DEP_2)
	v_mad_nc_u64_u32 v[4:5], s23, s4, v[0:1]
	v_cmp_gt_u32_e32 vcc_lo, s4, v0
	s_and_b32 s24, s0, vcc_lo
	v_mad_nc_u64_u32 v[10:11], v4, s1, v[2:3]
	s_delay_alu instid0(VALU_DEP_1) | instskip(NEXT) | instid1(VALU_DEP_1)
	v_mad_u32 v11, v5, s1, v11
	v_add_nc_u64_e32 v[4:5], s[14:15], v[10:11]
	s_and_saveexec_b32 s0, s24
	s_cbranch_execz .LBB20_5
; %bb.4:                                ;   in Loop: Header=BB20_3 Depth=1
	s_wait_loadcnt 0x0
	global_load_u8 v9, v[4:5], off
.LBB20_5:                               ;   in Loop: Header=BB20_3 Depth=1
	s_wait_xcnt 0x0
	s_or_b32 exec_lo, exec_lo, s0
	v_add_nc_u32_e32 v10, 2, v2
	s_delay_alu instid0(VALU_DEP_1) | instskip(SKIP_1) | instid1(SALU_CYCLE_1)
	v_cmp_gt_u32_e64 s0, s5, v10
	s_and_b32 s0, s0, vcc_lo
	s_and_saveexec_b32 s25, s0
	s_cbranch_execz .LBB20_7
; %bb.6:                                ;   in Loop: Header=BB20_3 Depth=1
	s_wait_loadcnt 0x0
	global_load_u8 v8, v[4:5], off offset:2
.LBB20_7:                               ;   in Loop: Header=BB20_3 Depth=1
	s_wait_xcnt 0x0
	s_or_b32 exec_lo, exec_lo, s25
	v_mad_nc_u64_u32 v[4:5], s23, s1, v[2:3]
	s_delay_alu instid0(VALU_DEP_1) | instskip(NEXT) | instid1(VALU_DEP_1)
	v_mad_nc_u64_u32 v[2:3], v4, s4, v[0:1]
	v_mad_u32 v3, v5, s4, v3
	s_and_saveexec_b32 s23, s24
	s_cbranch_execz .LBB20_9
; %bb.8:                                ;   in Loop: Header=BB20_3 Depth=1
	s_delay_alu instid0(VALU_DEP_1)
	v_add_nc_u64_e32 v[4:5], s[12:13], v[2:3]
	s_wait_loadcnt 0x0
	global_store_b8 v[4:5], v9, off
.LBB20_9:                               ;   in Loop: Header=BB20_3 Depth=1
	s_wait_xcnt 0x0
	s_or_b32 exec_lo, exec_lo, s23
	s_and_saveexec_b32 s23, s0
	s_cbranch_execz .LBB20_2
; %bb.10:                               ;   in Loop: Header=BB20_3 Depth=1
	s_delay_alu instid0(VALU_DEP_1)
	v_add_nc_u64_e32 v[2:3], s[20:21], v[2:3]
	s_wait_loadcnt 0x0
	global_store_b8 v[2:3], v8, off
	s_branch .LBB20_2
.LBB20_11:
	s_endpgm
	.section	.rodata,"a",@progbits
	.p2align	6, 0x0
	.amdhsa_kernel batched_transpose_4x128_byte
		.amdhsa_group_segment_fixed_size 0
		.amdhsa_private_segment_fixed_size 0
		.amdhsa_kernarg_size 48
		.amdhsa_user_sgpr_count 2
		.amdhsa_user_sgpr_dispatch_ptr 0
		.amdhsa_user_sgpr_queue_ptr 0
		.amdhsa_user_sgpr_kernarg_segment_ptr 1
		.amdhsa_user_sgpr_dispatch_id 0
		.amdhsa_user_sgpr_kernarg_preload_length 0
		.amdhsa_user_sgpr_kernarg_preload_offset 0
		.amdhsa_user_sgpr_private_segment_size 0
		.amdhsa_wavefront_size32 1
		.amdhsa_uses_dynamic_stack 0
		.amdhsa_enable_private_segment 0
		.amdhsa_system_sgpr_workgroup_id_x 1
		.amdhsa_system_sgpr_workgroup_id_y 0
		.amdhsa_system_sgpr_workgroup_id_z 0
		.amdhsa_system_sgpr_workgroup_info 0
		.amdhsa_system_vgpr_workitem_id 0
		.amdhsa_next_free_vgpr 12
		.amdhsa_next_free_sgpr 28
		.amdhsa_named_barrier_count 0
		.amdhsa_reserve_vcc 1
		.amdhsa_float_round_mode_32 0
		.amdhsa_float_round_mode_16_64 0
		.amdhsa_float_denorm_mode_32 3
		.amdhsa_float_denorm_mode_16_64 3
		.amdhsa_fp16_overflow 0
		.amdhsa_memory_ordered 1
		.amdhsa_forward_progress 1
		.amdhsa_inst_pref_size 4
		.amdhsa_round_robin_scheduling 0
		.amdhsa_exception_fp_ieee_invalid_op 0
		.amdhsa_exception_fp_denorm_src 0
		.amdhsa_exception_fp_ieee_div_zero 0
		.amdhsa_exception_fp_ieee_overflow 0
		.amdhsa_exception_fp_ieee_underflow 0
		.amdhsa_exception_fp_ieee_inexact 0
		.amdhsa_exception_int_div_zero 0
	.end_amdhsa_kernel
	.text
.Lfunc_end20:
	.size	batched_transpose_4x128_byte, .Lfunc_end20-batched_transpose_4x128_byte
                                        ; -- End function
	.set batched_transpose_4x128_byte.num_vgpr, 12
	.set batched_transpose_4x128_byte.num_agpr, 0
	.set batched_transpose_4x128_byte.numbered_sgpr, 28
	.set batched_transpose_4x128_byte.num_named_barrier, 0
	.set batched_transpose_4x128_byte.private_seg_size, 0
	.set batched_transpose_4x128_byte.uses_vcc, 1
	.set batched_transpose_4x128_byte.uses_flat_scratch, 0
	.set batched_transpose_4x128_byte.has_dyn_sized_stack, 0
	.set batched_transpose_4x128_byte.has_recursion, 0
	.set batched_transpose_4x128_byte.has_indirect_call, 0
	.section	.AMDGPU.csdata,"",@progbits
; Kernel info:
; codeLenInByte = 508
; TotalNumSgprs: 30
; NumVgprs: 12
; ScratchSize: 0
; MemoryBound: 0
; FloatMode: 240
; IeeeMode: 1
; LDSByteSize: 0 bytes/workgroup (compile time only)
; SGPRBlocks: 0
; VGPRBlocks: 0
; NumSGPRsForWavesPerEU: 30
; NumVGPRsForWavesPerEU: 12
; NamedBarCnt: 0
; Occupancy: 16
; WaveLimiterHint : 0
; COMPUTE_PGM_RSRC2:SCRATCH_EN: 0
; COMPUTE_PGM_RSRC2:USER_SGPR: 2
; COMPUTE_PGM_RSRC2:TRAP_HANDLER: 0
; COMPUTE_PGM_RSRC2:TGID_X_EN: 1
; COMPUTE_PGM_RSRC2:TGID_Y_EN: 0
; COMPUTE_PGM_RSRC2:TGID_Z_EN: 0
; COMPUTE_PGM_RSRC2:TIDIG_COMP_CNT: 0
	.text
	.protected	batched_transpose_128x4_dword ; -- Begin function batched_transpose_128x4_dword
	.globl	batched_transpose_128x4_dword
	.p2align	8
	.type	batched_transpose_128x4_dword,@function
batched_transpose_128x4_dword:          ; @batched_transpose_128x4_dword
; %bb.0:
	s_load_b256 s[4:11], s[0:1], 0x10
	s_bfe_u32 s2, ttmp6, 0x4000c
	s_and_b32 s3, ttmp6, 15
	s_add_co_i32 s2, s2, 1
	s_getreg_b32 s12, hwreg(HW_REG_IB_STS2, 6, 4)
	s_mul_i32 s2, ttmp9, s2
	s_delay_alu instid0(SALU_CYCLE_1)
	s_add_co_i32 s3, s3, s2
	s_cmp_eq_u32 s12, 0
	s_cselect_b32 s2, ttmp9, s3
	s_mov_b32 s3, 0
	s_wait_kmcnt 0x0
	s_cmp_ge_u32 s2, s7
	s_cbranch_scc1 .LBB21_11
; %bb.1:
	s_load_b128 s[12:15], s[0:1], 0x0
	v_and_b32_e32 v2, 0x7f, v0
	s_wait_xcnt 0x0
	s_add_co_i32 s0, s4, 3
	s_add_co_i32 s22, s5, 0x7f
	s_lshl_b32 s20, s5, 1
	s_mov_b32 s21, s3
	v_dual_mov_b32 v1, 0 :: v_dual_lshrrev_b32 v6, 7, v0
	v_lshl_or_b32 v7, s2, 7, v2
	s_mov_b32 s18, s8
	s_lshr_b32 s8, s0, 2
	s_lshl_b64 s[20:21], s[20:21], 2
	s_and_b32 s0, s22, 0xffffff80
	s_mov_b32 s16, s10
	s_mov_b32 s17, s3
	;; [unrolled: 1-line block ×4, first 2 shown]
	s_sub_co_i32 s10, 0, s0
	s_lshl_b32 s22, s6, 7
                                        ; implicit-def: $vgpr8
                                        ; implicit-def: $vgpr9
	s_wait_kmcnt 0x0
	s_add_nc_u64 s[20:21], s[14:15], s[20:21]
	s_branch .LBB21_3
.LBB21_2:                               ;   in Loop: Header=BB21_3 Depth=1
	s_wait_xcnt 0x0
	s_or_b32 exec_lo, exec_lo, s23
	v_add_nc_u32_e32 v7, s22, v7
	s_add_co_i32 s2, s2, s6
	s_delay_alu instid0(SALU_CYCLE_1)
	s_cmp_lt_u32 s2, s7
	s_cbranch_scc0 .LBB21_11
.LBB21_3:                               ; =>This Inner Loop Header: Depth=1
	s_mul_u64 s[24:25], s[16:17], s[2:3]
	v_mov_b32_e32 v3, v1
	s_add_co_i32 s0, s2, s25
	s_mov_b32 s25, s3
	s_lshr_b32 s24, s0, s11
	s_delay_alu instid0(SALU_CYCLE_1) | instskip(SKIP_2) | instid1(SALU_CYCLE_1)
	s_mul_u64 s[26:27], s[24:25], s[18:19]
	v_mad_u32 v2, s10, s24, v7
	s_add_co_i32 s0, s24, s27
	s_lshr_b32 s23, s0, s9
	s_delay_alu instid0(SALU_CYCLE_1) | instskip(NEXT) | instid1(SALU_CYCLE_1)
	s_mul_i32 s0, s23, s8
	s_sub_co_i32 s0, s24, s0
	s_delay_alu instid0(SALU_CYCLE_1) | instskip(NEXT) | instid1(VALU_DEP_2)
	v_lshl_or_b32 v0, s0, 2, v6
	v_cmp_gt_u32_e32 vcc_lo, s5, v2
	s_delay_alu instid0(VALU_DEP_2) | instskip(SKIP_3) | instid1(VALU_DEP_1)
	v_mad_nc_u64_u32 v[10:11], s23, s4, v[0:1]
	v_cmp_gt_u32_e64 s0, s4, v0
	s_and_b32 s24, s0, vcc_lo
	v_mad_nc_u64_u32 v[4:5], v10, s1, v[2:3]
	v_mad_u32 v5, v11, s1, v5
	s_and_saveexec_b32 s0, s24
	s_cbranch_execz .LBB21_5
; %bb.4:                                ;   in Loop: Header=BB21_3 Depth=1
	s_delay_alu instid0(VALU_DEP_1)
	v_lshl_add_u64 v[10:11], v[4:5], 2, s[14:15]
	s_wait_loadcnt 0x0
	global_load_b32 v9, v[10:11], off
.LBB21_5:                               ;   in Loop: Header=BB21_3 Depth=1
	s_wait_xcnt 0x0
	s_or_b32 exec_lo, exec_lo, s0
	v_add_nc_u32_e32 v10, 2, v0
	s_delay_alu instid0(VALU_DEP_1) | instskip(SKIP_1) | instid1(SALU_CYCLE_1)
	v_cmp_gt_u32_e64 s0, s4, v10
	s_and_b32 s0, s0, vcc_lo
	s_and_saveexec_b32 s25, s0
	s_cbranch_execz .LBB21_7
; %bb.6:                                ;   in Loop: Header=BB21_3 Depth=1
	v_lshl_add_u64 v[4:5], v[4:5], 2, s[20:21]
	s_wait_loadcnt 0x0
	global_load_b32 v8, v[4:5], off
.LBB21_7:                               ;   in Loop: Header=BB21_3 Depth=1
	s_wait_xcnt 0x0
	s_or_b32 exec_lo, exec_lo, s25
	v_mad_nc_u64_u32 v[2:3], s23, s1, v[2:3]
	s_delay_alu instid0(VALU_DEP_1) | instskip(NEXT) | instid1(VALU_DEP_1)
	v_mad_nc_u64_u32 v[4:5], v2, s4, v[0:1]
	v_mad_u32 v5, v3, s4, v5
	s_delay_alu instid0(VALU_DEP_1)
	v_lshl_add_u64 v[2:3], v[4:5], 2, s[12:13]
	s_and_saveexec_b32 s23, s24
	s_cbranch_execz .LBB21_9
; %bb.8:                                ;   in Loop: Header=BB21_3 Depth=1
	s_wait_loadcnt 0x0
	global_store_b32 v[2:3], v9, off
.LBB21_9:                               ;   in Loop: Header=BB21_3 Depth=1
	s_wait_xcnt 0x0
	s_or_b32 exec_lo, exec_lo, s23
	s_and_saveexec_b32 s23, s0
	s_cbranch_execz .LBB21_2
; %bb.10:                               ;   in Loop: Header=BB21_3 Depth=1
	s_wait_loadcnt 0x0
	global_store_b32 v[2:3], v8, off offset:8
	s_branch .LBB21_2
.LBB21_11:
	s_endpgm
	.section	.rodata,"a",@progbits
	.p2align	6, 0x0
	.amdhsa_kernel batched_transpose_128x4_dword
		.amdhsa_group_segment_fixed_size 0
		.amdhsa_private_segment_fixed_size 0
		.amdhsa_kernarg_size 48
		.amdhsa_user_sgpr_count 2
		.amdhsa_user_sgpr_dispatch_ptr 0
		.amdhsa_user_sgpr_queue_ptr 0
		.amdhsa_user_sgpr_kernarg_segment_ptr 1
		.amdhsa_user_sgpr_dispatch_id 0
		.amdhsa_user_sgpr_kernarg_preload_length 0
		.amdhsa_user_sgpr_kernarg_preload_offset 0
		.amdhsa_user_sgpr_private_segment_size 0
		.amdhsa_wavefront_size32 1
		.amdhsa_uses_dynamic_stack 0
		.amdhsa_enable_private_segment 0
		.amdhsa_system_sgpr_workgroup_id_x 1
		.amdhsa_system_sgpr_workgroup_id_y 0
		.amdhsa_system_sgpr_workgroup_id_z 0
		.amdhsa_system_sgpr_workgroup_info 0
		.amdhsa_system_vgpr_workitem_id 0
		.amdhsa_next_free_vgpr 12
		.amdhsa_next_free_sgpr 28
		.amdhsa_named_barrier_count 0
		.amdhsa_reserve_vcc 1
		.amdhsa_float_round_mode_32 0
		.amdhsa_float_round_mode_16_64 0
		.amdhsa_float_denorm_mode_32 3
		.amdhsa_float_denorm_mode_16_64 3
		.amdhsa_fp16_overflow 0
		.amdhsa_memory_ordered 1
		.amdhsa_forward_progress 1
		.amdhsa_inst_pref_size 5
		.amdhsa_round_robin_scheduling 0
		.amdhsa_exception_fp_ieee_invalid_op 0
		.amdhsa_exception_fp_denorm_src 0
		.amdhsa_exception_fp_ieee_div_zero 0
		.amdhsa_exception_fp_ieee_overflow 0
		.amdhsa_exception_fp_ieee_underflow 0
		.amdhsa_exception_fp_ieee_inexact 0
		.amdhsa_exception_int_div_zero 0
	.end_amdhsa_kernel
	.text
.Lfunc_end21:
	.size	batched_transpose_128x4_dword, .Lfunc_end21-batched_transpose_128x4_dword
                                        ; -- End function
	.set batched_transpose_128x4_dword.num_vgpr, 12
	.set batched_transpose_128x4_dword.num_agpr, 0
	.set batched_transpose_128x4_dword.numbered_sgpr, 28
	.set batched_transpose_128x4_dword.num_named_barrier, 0
	.set batched_transpose_128x4_dword.private_seg_size, 0
	.set batched_transpose_128x4_dword.uses_vcc, 1
	.set batched_transpose_128x4_dword.uses_flat_scratch, 0
	.set batched_transpose_128x4_dword.has_dyn_sized_stack, 0
	.set batched_transpose_128x4_dword.has_recursion, 0
	.set batched_transpose_128x4_dword.has_indirect_call, 0
	.section	.AMDGPU.csdata,"",@progbits
; Kernel info:
; codeLenInByte = 524
; TotalNumSgprs: 30
; NumVgprs: 12
; ScratchSize: 0
; MemoryBound: 0
; FloatMode: 240
; IeeeMode: 1
; LDSByteSize: 0 bytes/workgroup (compile time only)
; SGPRBlocks: 0
; VGPRBlocks: 0
; NumSGPRsForWavesPerEU: 30
; NumVGPRsForWavesPerEU: 12
; NamedBarCnt: 0
; Occupancy: 16
; WaveLimiterHint : 0
; COMPUTE_PGM_RSRC2:SCRATCH_EN: 0
; COMPUTE_PGM_RSRC2:USER_SGPR: 2
; COMPUTE_PGM_RSRC2:TRAP_HANDLER: 0
; COMPUTE_PGM_RSRC2:TGID_X_EN: 1
; COMPUTE_PGM_RSRC2:TGID_Y_EN: 0
; COMPUTE_PGM_RSRC2:TGID_Z_EN: 0
; COMPUTE_PGM_RSRC2:TIDIG_COMP_CNT: 0
	.text
	.protected	batched_transpose_128x4_half ; -- Begin function batched_transpose_128x4_half
	.globl	batched_transpose_128x4_half
	.p2align	8
	.type	batched_transpose_128x4_half,@function
batched_transpose_128x4_half:           ; @batched_transpose_128x4_half
; %bb.0:
	s_load_b256 s[4:11], s[0:1], 0x10
	s_bfe_u32 s2, ttmp6, 0x4000c
	s_and_b32 s3, ttmp6, 15
	s_add_co_i32 s2, s2, 1
	s_getreg_b32 s12, hwreg(HW_REG_IB_STS2, 6, 4)
	s_mul_i32 s2, ttmp9, s2
	s_delay_alu instid0(SALU_CYCLE_1)
	s_add_co_i32 s3, s3, s2
	s_cmp_eq_u32 s12, 0
	s_cselect_b32 s2, ttmp9, s3
	s_mov_b32 s3, 0
	s_wait_kmcnt 0x0
	s_cmp_ge_u32 s2, s7
	s_cbranch_scc1 .LBB22_11
; %bb.1:
	s_load_b128 s[12:15], s[0:1], 0x0
	v_and_b32_e32 v2, 0x7f, v0
	s_wait_xcnt 0x0
	s_add_co_i32 s0, s4, 3
	s_add_co_i32 s22, s5, 0x7f
	s_lshl_b32 s20, s5, 1
	s_mov_b32 s21, s3
	v_dual_mov_b32 v1, 0 :: v_dual_lshrrev_b32 v6, 7, v0
	v_lshl_or_b32 v7, s2, 7, v2
	s_mov_b32 s18, s8
	s_lshr_b32 s8, s0, 2
	s_lshl_b64 s[20:21], s[20:21], 1
	s_and_b32 s0, s22, 0xffffff80
	s_mov_b32 s16, s10
	s_mov_b32 s17, s3
	;; [unrolled: 1-line block ×4, first 2 shown]
	s_sub_co_i32 s10, 0, s0
	s_lshl_b32 s22, s6, 7
                                        ; implicit-def: $vgpr8
                                        ; implicit-def: $vgpr9
	s_wait_kmcnt 0x0
	s_add_nc_u64 s[20:21], s[14:15], s[20:21]
	s_branch .LBB22_3
.LBB22_2:                               ;   in Loop: Header=BB22_3 Depth=1
	s_wait_xcnt 0x0
	s_or_b32 exec_lo, exec_lo, s23
	v_add_nc_u32_e32 v7, s22, v7
	s_add_co_i32 s2, s2, s6
	s_delay_alu instid0(SALU_CYCLE_1)
	s_cmp_lt_u32 s2, s7
	s_cbranch_scc0 .LBB22_11
.LBB22_3:                               ; =>This Inner Loop Header: Depth=1
	s_mul_u64 s[24:25], s[16:17], s[2:3]
	v_mov_b32_e32 v3, v1
	s_add_co_i32 s0, s2, s25
	s_mov_b32 s25, s3
	s_lshr_b32 s24, s0, s11
	s_delay_alu instid0(SALU_CYCLE_1) | instskip(SKIP_2) | instid1(SALU_CYCLE_1)
	s_mul_u64 s[26:27], s[24:25], s[18:19]
	v_mad_u32 v2, s10, s24, v7
	s_add_co_i32 s0, s24, s27
	s_lshr_b32 s23, s0, s9
	s_delay_alu instid0(SALU_CYCLE_1) | instskip(NEXT) | instid1(SALU_CYCLE_1)
	s_mul_i32 s0, s23, s8
	s_sub_co_i32 s0, s24, s0
	s_delay_alu instid0(SALU_CYCLE_1) | instskip(NEXT) | instid1(VALU_DEP_2)
	v_lshl_or_b32 v0, s0, 2, v6
	v_cmp_gt_u32_e32 vcc_lo, s5, v2
	s_delay_alu instid0(VALU_DEP_2) | instskip(SKIP_3) | instid1(VALU_DEP_1)
	v_mad_nc_u64_u32 v[10:11], s23, s4, v[0:1]
	v_cmp_gt_u32_e64 s0, s4, v0
	s_and_b32 s24, s0, vcc_lo
	v_mad_nc_u64_u32 v[4:5], v10, s1, v[2:3]
	v_mad_u32 v5, v11, s1, v5
	s_and_saveexec_b32 s0, s24
	s_cbranch_execz .LBB22_5
; %bb.4:                                ;   in Loop: Header=BB22_3 Depth=1
	s_delay_alu instid0(VALU_DEP_1)
	v_lshl_add_u64 v[10:11], v[4:5], 1, s[14:15]
	s_wait_loadcnt 0x0
	global_load_u16 v9, v[10:11], off
.LBB22_5:                               ;   in Loop: Header=BB22_3 Depth=1
	s_wait_xcnt 0x0
	s_or_b32 exec_lo, exec_lo, s0
	v_add_nc_u32_e32 v10, 2, v0
	s_delay_alu instid0(VALU_DEP_1) | instskip(SKIP_1) | instid1(SALU_CYCLE_1)
	v_cmp_gt_u32_e64 s0, s4, v10
	s_and_b32 s0, s0, vcc_lo
	s_and_saveexec_b32 s25, s0
	s_cbranch_execz .LBB22_7
; %bb.6:                                ;   in Loop: Header=BB22_3 Depth=1
	v_lshl_add_u64 v[4:5], v[4:5], 1, s[20:21]
	s_wait_loadcnt 0x0
	global_load_u16 v8, v[4:5], off
.LBB22_7:                               ;   in Loop: Header=BB22_3 Depth=1
	s_wait_xcnt 0x0
	s_or_b32 exec_lo, exec_lo, s25
	v_mad_nc_u64_u32 v[2:3], s23, s1, v[2:3]
	s_delay_alu instid0(VALU_DEP_1) | instskip(NEXT) | instid1(VALU_DEP_1)
	v_mad_nc_u64_u32 v[4:5], v2, s4, v[0:1]
	v_mad_u32 v5, v3, s4, v5
	s_delay_alu instid0(VALU_DEP_1)
	v_lshl_add_u64 v[2:3], v[4:5], 1, s[12:13]
	s_and_saveexec_b32 s23, s24
	s_cbranch_execz .LBB22_9
; %bb.8:                                ;   in Loop: Header=BB22_3 Depth=1
	s_wait_loadcnt 0x0
	global_store_b16 v[2:3], v9, off
.LBB22_9:                               ;   in Loop: Header=BB22_3 Depth=1
	s_wait_xcnt 0x0
	s_or_b32 exec_lo, exec_lo, s23
	s_and_saveexec_b32 s23, s0
	s_cbranch_execz .LBB22_2
; %bb.10:                               ;   in Loop: Header=BB22_3 Depth=1
	s_wait_loadcnt 0x0
	global_store_b16 v[2:3], v8, off offset:4
	s_branch .LBB22_2
.LBB22_11:
	s_endpgm
	.section	.rodata,"a",@progbits
	.p2align	6, 0x0
	.amdhsa_kernel batched_transpose_128x4_half
		.amdhsa_group_segment_fixed_size 0
		.amdhsa_private_segment_fixed_size 0
		.amdhsa_kernarg_size 48
		.amdhsa_user_sgpr_count 2
		.amdhsa_user_sgpr_dispatch_ptr 0
		.amdhsa_user_sgpr_queue_ptr 0
		.amdhsa_user_sgpr_kernarg_segment_ptr 1
		.amdhsa_user_sgpr_dispatch_id 0
		.amdhsa_user_sgpr_kernarg_preload_length 0
		.amdhsa_user_sgpr_kernarg_preload_offset 0
		.amdhsa_user_sgpr_private_segment_size 0
		.amdhsa_wavefront_size32 1
		.amdhsa_uses_dynamic_stack 0
		.amdhsa_enable_private_segment 0
		.amdhsa_system_sgpr_workgroup_id_x 1
		.amdhsa_system_sgpr_workgroup_id_y 0
		.amdhsa_system_sgpr_workgroup_id_z 0
		.amdhsa_system_sgpr_workgroup_info 0
		.amdhsa_system_vgpr_workitem_id 0
		.amdhsa_next_free_vgpr 12
		.amdhsa_next_free_sgpr 28
		.amdhsa_named_barrier_count 0
		.amdhsa_reserve_vcc 1
		.amdhsa_float_round_mode_32 0
		.amdhsa_float_round_mode_16_64 0
		.amdhsa_float_denorm_mode_32 3
		.amdhsa_float_denorm_mode_16_64 3
		.amdhsa_fp16_overflow 0
		.amdhsa_memory_ordered 1
		.amdhsa_forward_progress 1
		.amdhsa_inst_pref_size 5
		.amdhsa_round_robin_scheduling 0
		.amdhsa_exception_fp_ieee_invalid_op 0
		.amdhsa_exception_fp_denorm_src 0
		.amdhsa_exception_fp_ieee_div_zero 0
		.amdhsa_exception_fp_ieee_overflow 0
		.amdhsa_exception_fp_ieee_underflow 0
		.amdhsa_exception_fp_ieee_inexact 0
		.amdhsa_exception_int_div_zero 0
	.end_amdhsa_kernel
	.text
.Lfunc_end22:
	.size	batched_transpose_128x4_half, .Lfunc_end22-batched_transpose_128x4_half
                                        ; -- End function
	.set batched_transpose_128x4_half.num_vgpr, 12
	.set batched_transpose_128x4_half.num_agpr, 0
	.set batched_transpose_128x4_half.numbered_sgpr, 28
	.set batched_transpose_128x4_half.num_named_barrier, 0
	.set batched_transpose_128x4_half.private_seg_size, 0
	.set batched_transpose_128x4_half.uses_vcc, 1
	.set batched_transpose_128x4_half.uses_flat_scratch, 0
	.set batched_transpose_128x4_half.has_dyn_sized_stack, 0
	.set batched_transpose_128x4_half.has_recursion, 0
	.set batched_transpose_128x4_half.has_indirect_call, 0
	.section	.AMDGPU.csdata,"",@progbits
; Kernel info:
; codeLenInByte = 524
; TotalNumSgprs: 30
; NumVgprs: 12
; ScratchSize: 0
; MemoryBound: 0
; FloatMode: 240
; IeeeMode: 1
; LDSByteSize: 0 bytes/workgroup (compile time only)
; SGPRBlocks: 0
; VGPRBlocks: 0
; NumSGPRsForWavesPerEU: 30
; NumVGPRsForWavesPerEU: 12
; NamedBarCnt: 0
; Occupancy: 16
; WaveLimiterHint : 0
; COMPUTE_PGM_RSRC2:SCRATCH_EN: 0
; COMPUTE_PGM_RSRC2:USER_SGPR: 2
; COMPUTE_PGM_RSRC2:TRAP_HANDLER: 0
; COMPUTE_PGM_RSRC2:TGID_X_EN: 1
; COMPUTE_PGM_RSRC2:TGID_Y_EN: 0
; COMPUTE_PGM_RSRC2:TGID_Z_EN: 0
; COMPUTE_PGM_RSRC2:TIDIG_COMP_CNT: 0
	.text
	.protected	batched_transpose_128x4_byte ; -- Begin function batched_transpose_128x4_byte
	.globl	batched_transpose_128x4_byte
	.p2align	8
	.type	batched_transpose_128x4_byte,@function
batched_transpose_128x4_byte:           ; @batched_transpose_128x4_byte
; %bb.0:
	s_load_b256 s[4:11], s[0:1], 0x10
	s_bfe_u32 s2, ttmp6, 0x4000c
	s_and_b32 s3, ttmp6, 15
	s_add_co_i32 s2, s2, 1
	s_getreg_b32 s12, hwreg(HW_REG_IB_STS2, 6, 4)
	s_mul_i32 s2, ttmp9, s2
	s_delay_alu instid0(SALU_CYCLE_1)
	s_add_co_i32 s3, s3, s2
	s_cmp_eq_u32 s12, 0
	s_cselect_b32 s2, ttmp9, s3
	s_mov_b32 s3, 0
	s_wait_kmcnt 0x0
	s_cmp_ge_u32 s2, s7
	s_cbranch_scc1 .LBB23_11
; %bb.1:
	s_load_b128 s[12:15], s[0:1], 0x0
	v_and_b32_e32 v2, 0x7f, v0
	s_wait_xcnt 0x0
	s_add_co_i32 s0, s4, 3
	s_add_co_i32 s22, s5, 0x7f
	v_dual_mov_b32 v1, 0 :: v_dual_lshrrev_b32 v6, 7, v0
	v_lshl_or_b32 v7, s2, 7, v2
	s_mov_b32 s18, s8
	s_lshl_b32 s20, s5, 1
	s_mov_b32 s21, s3
	s_lshr_b32 s8, s0, 2
	s_and_b32 s0, s22, 0xffffff80
	s_mov_b32 s16, s10
	s_mov_b32 s17, s3
	;; [unrolled: 1-line block ×4, first 2 shown]
	s_sub_co_i32 s10, 0, s0
	s_lshl_b32 s22, s6, 7
                                        ; implicit-def: $vgpr8
                                        ; implicit-def: $vgpr9
	s_wait_kmcnt 0x0
	s_add_nc_u64 s[20:21], s[14:15], s[20:21]
	s_branch .LBB23_3
.LBB23_2:                               ;   in Loop: Header=BB23_3 Depth=1
	s_wait_xcnt 0x0
	s_or_b32 exec_lo, exec_lo, s23
	v_add_nc_u32_e32 v7, s22, v7
	s_add_co_i32 s2, s2, s6
	s_delay_alu instid0(SALU_CYCLE_1)
	s_cmp_lt_u32 s2, s7
	s_cbranch_scc0 .LBB23_11
.LBB23_3:                               ; =>This Inner Loop Header: Depth=1
	s_mul_u64 s[24:25], s[16:17], s[2:3]
	v_mov_b32_e32 v3, v1
	s_add_co_i32 s0, s2, s25
	s_mov_b32 s25, s3
	s_lshr_b32 s24, s0, s11
	s_delay_alu instid0(SALU_CYCLE_1) | instskip(SKIP_2) | instid1(SALU_CYCLE_1)
	s_mul_u64 s[26:27], s[24:25], s[18:19]
	v_mad_u32 v2, s10, s24, v7
	s_add_co_i32 s0, s24, s27
	s_lshr_b32 s23, s0, s9
	s_delay_alu instid0(SALU_CYCLE_1) | instskip(NEXT) | instid1(SALU_CYCLE_1)
	s_mul_i32 s0, s23, s8
	s_sub_co_i32 s0, s24, s0
	s_delay_alu instid0(SALU_CYCLE_1) | instskip(NEXT) | instid1(VALU_DEP_2)
	v_lshl_or_b32 v0, s0, 2, v6
	v_cmp_gt_u32_e32 vcc_lo, s5, v2
	s_delay_alu instid0(VALU_DEP_2) | instskip(SKIP_3) | instid1(VALU_DEP_1)
	v_mad_nc_u64_u32 v[10:11], s23, s4, v[0:1]
	v_cmp_gt_u32_e64 s0, s4, v0
	s_and_b32 s24, s0, vcc_lo
	v_mad_nc_u64_u32 v[4:5], v10, s1, v[2:3]
	v_mad_u32 v5, v11, s1, v5
	s_and_saveexec_b32 s0, s24
	s_cbranch_execz .LBB23_5
; %bb.4:                                ;   in Loop: Header=BB23_3 Depth=1
	s_delay_alu instid0(VALU_DEP_1)
	v_add_nc_u64_e32 v[10:11], s[14:15], v[4:5]
	s_wait_loadcnt 0x0
	global_load_u8 v9, v[10:11], off
.LBB23_5:                               ;   in Loop: Header=BB23_3 Depth=1
	s_wait_xcnt 0x0
	s_or_b32 exec_lo, exec_lo, s0
	v_add_nc_u32_e32 v10, 2, v0
	s_delay_alu instid0(VALU_DEP_1) | instskip(SKIP_1) | instid1(SALU_CYCLE_1)
	v_cmp_gt_u32_e64 s0, s4, v10
	s_and_b32 s0, s0, vcc_lo
	s_and_saveexec_b32 s25, s0
	s_cbranch_execz .LBB23_7
; %bb.6:                                ;   in Loop: Header=BB23_3 Depth=1
	v_add_nc_u64_e32 v[4:5], s[20:21], v[4:5]
	s_wait_loadcnt 0x0
	global_load_u8 v8, v[4:5], off
.LBB23_7:                               ;   in Loop: Header=BB23_3 Depth=1
	s_wait_xcnt 0x0
	s_or_b32 exec_lo, exec_lo, s25
	v_mad_nc_u64_u32 v[2:3], s23, s1, v[2:3]
	s_delay_alu instid0(VALU_DEP_1) | instskip(NEXT) | instid1(VALU_DEP_1)
	v_mad_nc_u64_u32 v[4:5], v2, s4, v[0:1]
	v_mad_u32 v5, v3, s4, v5
	s_delay_alu instid0(VALU_DEP_1)
	v_add_nc_u64_e32 v[2:3], s[12:13], v[4:5]
	s_and_saveexec_b32 s23, s24
	s_cbranch_execz .LBB23_9
; %bb.8:                                ;   in Loop: Header=BB23_3 Depth=1
	s_wait_loadcnt 0x0
	global_store_b8 v[2:3], v9, off
.LBB23_9:                               ;   in Loop: Header=BB23_3 Depth=1
	s_wait_xcnt 0x0
	s_or_b32 exec_lo, exec_lo, s23
	s_and_saveexec_b32 s23, s0
	s_cbranch_execz .LBB23_2
; %bb.10:                               ;   in Loop: Header=BB23_3 Depth=1
	s_wait_loadcnt 0x0
	global_store_b8 v[2:3], v8, off offset:2
	s_branch .LBB23_2
.LBB23_11:
	s_endpgm
	.section	.rodata,"a",@progbits
	.p2align	6, 0x0
	.amdhsa_kernel batched_transpose_128x4_byte
		.amdhsa_group_segment_fixed_size 0
		.amdhsa_private_segment_fixed_size 0
		.amdhsa_kernarg_size 48
		.amdhsa_user_sgpr_count 2
		.amdhsa_user_sgpr_dispatch_ptr 0
		.amdhsa_user_sgpr_queue_ptr 0
		.amdhsa_user_sgpr_kernarg_segment_ptr 1
		.amdhsa_user_sgpr_dispatch_id 0
		.amdhsa_user_sgpr_kernarg_preload_length 0
		.amdhsa_user_sgpr_kernarg_preload_offset 0
		.amdhsa_user_sgpr_private_segment_size 0
		.amdhsa_wavefront_size32 1
		.amdhsa_uses_dynamic_stack 0
		.amdhsa_enable_private_segment 0
		.amdhsa_system_sgpr_workgroup_id_x 1
		.amdhsa_system_sgpr_workgroup_id_y 0
		.amdhsa_system_sgpr_workgroup_id_z 0
		.amdhsa_system_sgpr_workgroup_info 0
		.amdhsa_system_vgpr_workitem_id 0
		.amdhsa_next_free_vgpr 12
		.amdhsa_next_free_sgpr 28
		.amdhsa_named_barrier_count 0
		.amdhsa_reserve_vcc 1
		.amdhsa_float_round_mode_32 0
		.amdhsa_float_round_mode_16_64 0
		.amdhsa_float_denorm_mode_32 3
		.amdhsa_float_denorm_mode_16_64 3
		.amdhsa_fp16_overflow 0
		.amdhsa_memory_ordered 1
		.amdhsa_forward_progress 1
		.amdhsa_inst_pref_size 4
		.amdhsa_round_robin_scheduling 0
		.amdhsa_exception_fp_ieee_invalid_op 0
		.amdhsa_exception_fp_denorm_src 0
		.amdhsa_exception_fp_ieee_div_zero 0
		.amdhsa_exception_fp_ieee_overflow 0
		.amdhsa_exception_fp_ieee_underflow 0
		.amdhsa_exception_fp_ieee_inexact 0
		.amdhsa_exception_int_div_zero 0
	.end_amdhsa_kernel
	.text
.Lfunc_end23:
	.size	batched_transpose_128x4_byte, .Lfunc_end23-batched_transpose_128x4_byte
                                        ; -- End function
	.set batched_transpose_128x4_byte.num_vgpr, 12
	.set batched_transpose_128x4_byte.num_agpr, 0
	.set batched_transpose_128x4_byte.numbered_sgpr, 28
	.set batched_transpose_128x4_byte.num_named_barrier, 0
	.set batched_transpose_128x4_byte.private_seg_size, 0
	.set batched_transpose_128x4_byte.uses_vcc, 1
	.set batched_transpose_128x4_byte.uses_flat_scratch, 0
	.set batched_transpose_128x4_byte.has_dyn_sized_stack, 0
	.set batched_transpose_128x4_byte.has_recursion, 0
	.set batched_transpose_128x4_byte.has_indirect_call, 0
	.section	.AMDGPU.csdata,"",@progbits
; Kernel info:
; codeLenInByte = 508
; TotalNumSgprs: 30
; NumVgprs: 12
; ScratchSize: 0
; MemoryBound: 0
; FloatMode: 240
; IeeeMode: 1
; LDSByteSize: 0 bytes/workgroup (compile time only)
; SGPRBlocks: 0
; VGPRBlocks: 0
; NumSGPRsForWavesPerEU: 30
; NumVGPRsForWavesPerEU: 12
; NamedBarCnt: 0
; Occupancy: 16
; WaveLimiterHint : 0
; COMPUTE_PGM_RSRC2:SCRATCH_EN: 0
; COMPUTE_PGM_RSRC2:USER_SGPR: 2
; COMPUTE_PGM_RSRC2:TRAP_HANDLER: 0
; COMPUTE_PGM_RSRC2:TGID_X_EN: 1
; COMPUTE_PGM_RSRC2:TGID_Y_EN: 0
; COMPUTE_PGM_RSRC2:TGID_Z_EN: 0
; COMPUTE_PGM_RSRC2:TIDIG_COMP_CNT: 0
	.text
	.protected	batched_transpose_4x64_dword ; -- Begin function batched_transpose_4x64_dword
	.globl	batched_transpose_4x64_dword
	.p2align	8
	.type	batched_transpose_4x64_dword,@function
batched_transpose_4x64_dword:           ; @batched_transpose_4x64_dword
; %bb.0:
	s_load_b256 s[4:11], s[0:1], 0x10
	s_bfe_u32 s2, ttmp6, 0x4000c
	s_and_b32 s3, ttmp6, 15
	s_add_co_i32 s2, s2, 1
	s_getreg_b32 s12, hwreg(HW_REG_IB_STS2, 6, 4)
	s_mul_i32 s2, ttmp9, s2
	s_delay_alu instid0(SALU_CYCLE_1)
	s_add_co_i32 s3, s3, s2
	s_cmp_eq_u32 s12, 0
	s_cselect_b32 s2, ttmp9, s3
	s_mov_b32 s3, 0
	s_wait_kmcnt 0x0
	s_cmp_ge_u32 s2, s7
	s_cbranch_scc1 .LBB24_7
; %bb.1:
	s_load_b128 s[12:15], s[0:1], 0x0
	v_dual_lshrrev_b32 v1, 6, v0 :: v_dual_bitop2_b32 v4, 63, v0 bitop3:0x40
	s_wait_xcnt 0x0
	s_add_co_i32 s0, s4, 63
	s_mov_b32 s16, s10
	s_lshr_b32 s1, s0, 6
	s_add_co_i32 s0, s5, 3
	v_lshl_or_b32 v5, s2, 2, v1
	v_mov_b32_e32 v1, 0
	s_and_b32 s0, s0, -4
	s_mov_b32 s17, s3
	s_mov_b32 s18, s8
	;; [unrolled: 1-line block ×7, first 2 shown]
	s_sub_co_i32 s8, 0, s0
	s_lshl_b32 s10, s6, 2
                                        ; implicit-def: $vgpr6
	s_branch .LBB24_3
.LBB24_2:                               ;   in Loop: Header=BB24_3 Depth=1
	s_wait_xcnt 0x0
	s_or_b32 exec_lo, exec_lo, s25
	v_add_nc_u32_e32 v5, s10, v5
	s_add_co_i32 s2, s2, s6
	s_delay_alu instid0(SALU_CYCLE_1)
	s_cmp_lt_u32 s2, s7
	s_cbranch_scc0 .LBB24_7
.LBB24_3:                               ; =>This Inner Loop Header: Depth=1
	s_mul_u64 s[24:25], s[16:17], s[2:3]
	s_mov_b32 s27, s3
	s_add_co_i32 s0, s2, s25
	v_mov_b32_e32 v3, v1
	s_lshr_b32 s26, s0, s11
	s_delay_alu instid0(SALU_CYCLE_1) | instskip(SKIP_2) | instid1(SALU_CYCLE_1)
	s_mul_u64 s[24:25], s[26:27], s[18:19]
	v_mad_u32 v2, s8, s26, v5
	s_add_co_i32 s0, s26, s25
	s_lshr_b32 s24, s0, s9
	s_delay_alu instid0(SALU_CYCLE_1) | instskip(NEXT) | instid1(SALU_CYCLE_1)
	s_mul_i32 s0, s24, s1
	s_sub_co_i32 s0, s26, s0
	s_delay_alu instid0(SALU_CYCLE_1) | instskip(NEXT) | instid1(VALU_DEP_2)
	v_lshl_or_b32 v0, s0, 6, v4
	v_cmp_gt_u32_e64 s0, s5, v2
	s_delay_alu instid0(VALU_DEP_2) | instskip(SKIP_1) | instid1(SALU_CYCLE_1)
	v_cmp_gt_u32_e32 vcc_lo, s4, v0
	s_and_b32 s0, s0, vcc_lo
	s_and_saveexec_b32 s25, s0
	s_cbranch_execz .LBB24_5
; %bb.4:                                ;   in Loop: Header=BB24_3 Depth=1
	s_wait_loadcnt 0x0
	v_mad_nc_u64_u32 v[6:7], s24, s20, v[0:1]
	s_delay_alu instid0(VALU_DEP_1) | instskip(SKIP_1) | instid1(VALU_DEP_1)
	v_mul_u64_e32 v[6:7], s[22:23], v[6:7]
	s_wait_kmcnt 0x0
	v_lshl_add_u64 v[6:7], v[6:7], 2, s[14:15]
	s_delay_alu instid0(VALU_DEP_1)
	v_lshl_add_u64 v[6:7], v[2:3], 2, v[6:7]
	global_load_b32 v6, v[6:7], off
.LBB24_5:                               ;   in Loop: Header=BB24_3 Depth=1
	s_wait_xcnt 0x0
	s_or_b32 exec_lo, exec_lo, s25
	s_and_saveexec_b32 s25, s0
	s_cbranch_execz .LBB24_2
; %bb.6:                                ;   in Loop: Header=BB24_3 Depth=1
	v_mad_nc_u64_u32 v[2:3], s24, s22, v[2:3]
	s_delay_alu instid0(VALU_DEP_1) | instskip(SKIP_1) | instid1(VALU_DEP_1)
	v_mul_u64_e32 v[2:3], s[20:21], v[2:3]
	s_wait_kmcnt 0x0
	v_lshl_add_u64 v[2:3], v[2:3], 2, s[12:13]
	s_delay_alu instid0(VALU_DEP_1)
	v_lshl_add_u64 v[2:3], v[0:1], 2, v[2:3]
	s_wait_loadcnt 0x0
	global_store_b32 v[2:3], v6, off
	s_branch .LBB24_2
.LBB24_7:
	s_endpgm
	.section	.rodata,"a",@progbits
	.p2align	6, 0x0
	.amdhsa_kernel batched_transpose_4x64_dword
		.amdhsa_group_segment_fixed_size 0
		.amdhsa_private_segment_fixed_size 0
		.amdhsa_kernarg_size 48
		.amdhsa_user_sgpr_count 2
		.amdhsa_user_sgpr_dispatch_ptr 0
		.amdhsa_user_sgpr_queue_ptr 0
		.amdhsa_user_sgpr_kernarg_segment_ptr 1
		.amdhsa_user_sgpr_dispatch_id 0
		.amdhsa_user_sgpr_kernarg_preload_length 0
		.amdhsa_user_sgpr_kernarg_preload_offset 0
		.amdhsa_user_sgpr_private_segment_size 0
		.amdhsa_wavefront_size32 1
		.amdhsa_uses_dynamic_stack 0
		.amdhsa_enable_private_segment 0
		.amdhsa_system_sgpr_workgroup_id_x 1
		.amdhsa_system_sgpr_workgroup_id_y 0
		.amdhsa_system_sgpr_workgroup_id_z 0
		.amdhsa_system_sgpr_workgroup_info 0
		.amdhsa_system_vgpr_workitem_id 0
		.amdhsa_next_free_vgpr 8
		.amdhsa_next_free_sgpr 28
		.amdhsa_named_barrier_count 0
		.amdhsa_reserve_vcc 1
		.amdhsa_float_round_mode_32 0
		.amdhsa_float_round_mode_16_64 0
		.amdhsa_float_denorm_mode_32 3
		.amdhsa_float_denorm_mode_16_64 3
		.amdhsa_fp16_overflow 0
		.amdhsa_memory_ordered 1
		.amdhsa_forward_progress 1
		.amdhsa_inst_pref_size 4
		.amdhsa_round_robin_scheduling 0
		.amdhsa_exception_fp_ieee_invalid_op 0
		.amdhsa_exception_fp_denorm_src 0
		.amdhsa_exception_fp_ieee_div_zero 0
		.amdhsa_exception_fp_ieee_overflow 0
		.amdhsa_exception_fp_ieee_underflow 0
		.amdhsa_exception_fp_ieee_inexact 0
		.amdhsa_exception_int_div_zero 0
	.end_amdhsa_kernel
	.text
.Lfunc_end24:
	.size	batched_transpose_4x64_dword, .Lfunc_end24-batched_transpose_4x64_dword
                                        ; -- End function
	.set batched_transpose_4x64_dword.num_vgpr, 8
	.set batched_transpose_4x64_dword.num_agpr, 0
	.set batched_transpose_4x64_dword.numbered_sgpr, 28
	.set batched_transpose_4x64_dword.num_named_barrier, 0
	.set batched_transpose_4x64_dword.private_seg_size, 0
	.set batched_transpose_4x64_dword.uses_vcc, 1
	.set batched_transpose_4x64_dword.uses_flat_scratch, 0
	.set batched_transpose_4x64_dword.has_dyn_sized_stack, 0
	.set batched_transpose_4x64_dword.has_recursion, 0
	.set batched_transpose_4x64_dword.has_indirect_call, 0
	.section	.AMDGPU.csdata,"",@progbits
; Kernel info:
; codeLenInByte = 420
; TotalNumSgprs: 30
; NumVgprs: 8
; ScratchSize: 0
; MemoryBound: 0
; FloatMode: 240
; IeeeMode: 1
; LDSByteSize: 0 bytes/workgroup (compile time only)
; SGPRBlocks: 0
; VGPRBlocks: 0
; NumSGPRsForWavesPerEU: 30
; NumVGPRsForWavesPerEU: 8
; NamedBarCnt: 0
; Occupancy: 16
; WaveLimiterHint : 0
; COMPUTE_PGM_RSRC2:SCRATCH_EN: 0
; COMPUTE_PGM_RSRC2:USER_SGPR: 2
; COMPUTE_PGM_RSRC2:TRAP_HANDLER: 0
; COMPUTE_PGM_RSRC2:TGID_X_EN: 1
; COMPUTE_PGM_RSRC2:TGID_Y_EN: 0
; COMPUTE_PGM_RSRC2:TGID_Z_EN: 0
; COMPUTE_PGM_RSRC2:TIDIG_COMP_CNT: 0
	.text
	.protected	batched_transpose_4x64_half ; -- Begin function batched_transpose_4x64_half
	.globl	batched_transpose_4x64_half
	.p2align	8
	.type	batched_transpose_4x64_half,@function
batched_transpose_4x64_half:            ; @batched_transpose_4x64_half
; %bb.0:
	s_load_b256 s[4:11], s[0:1], 0x10
	s_bfe_u32 s2, ttmp6, 0x4000c
	s_and_b32 s3, ttmp6, 15
	s_add_co_i32 s2, s2, 1
	s_getreg_b32 s12, hwreg(HW_REG_IB_STS2, 6, 4)
	s_mul_i32 s2, ttmp9, s2
	s_delay_alu instid0(SALU_CYCLE_1)
	s_add_co_i32 s3, s3, s2
	s_cmp_eq_u32 s12, 0
	s_cselect_b32 s2, ttmp9, s3
	s_mov_b32 s3, 0
	s_wait_kmcnt 0x0
	s_cmp_ge_u32 s2, s7
	s_cbranch_scc1 .LBB25_7
; %bb.1:
	s_load_b128 s[12:15], s[0:1], 0x0
	v_dual_lshrrev_b32 v1, 6, v0 :: v_dual_bitop2_b32 v4, 63, v0 bitop3:0x40
	s_wait_xcnt 0x0
	s_add_co_i32 s0, s4, 63
	s_mov_b32 s16, s10
	s_lshr_b32 s1, s0, 6
	s_add_co_i32 s0, s5, 3
	v_lshl_or_b32 v5, s2, 2, v1
	v_mov_b32_e32 v1, 0
	s_and_b32 s0, s0, -4
	s_mov_b32 s17, s3
	s_mov_b32 s18, s8
	;; [unrolled: 1-line block ×7, first 2 shown]
	s_sub_co_i32 s8, 0, s0
	s_lshl_b32 s10, s6, 2
                                        ; implicit-def: $vgpr6
	s_branch .LBB25_3
.LBB25_2:                               ;   in Loop: Header=BB25_3 Depth=1
	s_wait_xcnt 0x0
	s_or_b32 exec_lo, exec_lo, s25
	v_add_nc_u32_e32 v5, s10, v5
	s_add_co_i32 s2, s2, s6
	s_delay_alu instid0(SALU_CYCLE_1)
	s_cmp_lt_u32 s2, s7
	s_cbranch_scc0 .LBB25_7
.LBB25_3:                               ; =>This Inner Loop Header: Depth=1
	s_mul_u64 s[24:25], s[16:17], s[2:3]
	s_mov_b32 s27, s3
	s_add_co_i32 s0, s2, s25
	v_mov_b32_e32 v3, v1
	s_lshr_b32 s26, s0, s11
	s_delay_alu instid0(SALU_CYCLE_1) | instskip(SKIP_2) | instid1(SALU_CYCLE_1)
	s_mul_u64 s[24:25], s[26:27], s[18:19]
	v_mad_u32 v2, s8, s26, v5
	s_add_co_i32 s0, s26, s25
	s_lshr_b32 s24, s0, s9
	s_delay_alu instid0(SALU_CYCLE_1) | instskip(NEXT) | instid1(SALU_CYCLE_1)
	s_mul_i32 s0, s24, s1
	s_sub_co_i32 s0, s26, s0
	s_delay_alu instid0(SALU_CYCLE_1) | instskip(NEXT) | instid1(VALU_DEP_2)
	v_lshl_or_b32 v0, s0, 6, v4
	v_cmp_gt_u32_e64 s0, s5, v2
	s_delay_alu instid0(VALU_DEP_2) | instskip(SKIP_1) | instid1(SALU_CYCLE_1)
	v_cmp_gt_u32_e32 vcc_lo, s4, v0
	s_and_b32 s0, s0, vcc_lo
	s_and_saveexec_b32 s25, s0
	s_cbranch_execz .LBB25_5
; %bb.4:                                ;   in Loop: Header=BB25_3 Depth=1
	s_wait_loadcnt 0x0
	v_mad_nc_u64_u32 v[6:7], s24, s20, v[0:1]
	s_delay_alu instid0(VALU_DEP_1) | instskip(SKIP_1) | instid1(VALU_DEP_1)
	v_mul_u64_e32 v[6:7], s[22:23], v[6:7]
	s_wait_kmcnt 0x0
	v_lshl_add_u64 v[6:7], v[6:7], 1, s[14:15]
	s_delay_alu instid0(VALU_DEP_1)
	v_lshl_add_u64 v[6:7], v[2:3], 1, v[6:7]
	global_load_u16 v6, v[6:7], off
.LBB25_5:                               ;   in Loop: Header=BB25_3 Depth=1
	s_wait_xcnt 0x0
	s_or_b32 exec_lo, exec_lo, s25
	s_and_saveexec_b32 s25, s0
	s_cbranch_execz .LBB25_2
; %bb.6:                                ;   in Loop: Header=BB25_3 Depth=1
	v_mad_nc_u64_u32 v[2:3], s24, s22, v[2:3]
	s_delay_alu instid0(VALU_DEP_1) | instskip(SKIP_1) | instid1(VALU_DEP_1)
	v_mul_u64_e32 v[2:3], s[20:21], v[2:3]
	s_wait_kmcnt 0x0
	v_lshl_add_u64 v[2:3], v[2:3], 1, s[12:13]
	s_delay_alu instid0(VALU_DEP_1)
	v_lshl_add_u64 v[2:3], v[0:1], 1, v[2:3]
	s_wait_loadcnt 0x0
	global_store_b16 v[2:3], v6, off
	s_branch .LBB25_2
.LBB25_7:
	s_endpgm
	.section	.rodata,"a",@progbits
	.p2align	6, 0x0
	.amdhsa_kernel batched_transpose_4x64_half
		.amdhsa_group_segment_fixed_size 0
		.amdhsa_private_segment_fixed_size 0
		.amdhsa_kernarg_size 48
		.amdhsa_user_sgpr_count 2
		.amdhsa_user_sgpr_dispatch_ptr 0
		.amdhsa_user_sgpr_queue_ptr 0
		.amdhsa_user_sgpr_kernarg_segment_ptr 1
		.amdhsa_user_sgpr_dispatch_id 0
		.amdhsa_user_sgpr_kernarg_preload_length 0
		.amdhsa_user_sgpr_kernarg_preload_offset 0
		.amdhsa_user_sgpr_private_segment_size 0
		.amdhsa_wavefront_size32 1
		.amdhsa_uses_dynamic_stack 0
		.amdhsa_enable_private_segment 0
		.amdhsa_system_sgpr_workgroup_id_x 1
		.amdhsa_system_sgpr_workgroup_id_y 0
		.amdhsa_system_sgpr_workgroup_id_z 0
		.amdhsa_system_sgpr_workgroup_info 0
		.amdhsa_system_vgpr_workitem_id 0
		.amdhsa_next_free_vgpr 8
		.amdhsa_next_free_sgpr 28
		.amdhsa_named_barrier_count 0
		.amdhsa_reserve_vcc 1
		.amdhsa_float_round_mode_32 0
		.amdhsa_float_round_mode_16_64 0
		.amdhsa_float_denorm_mode_32 3
		.amdhsa_float_denorm_mode_16_64 3
		.amdhsa_fp16_overflow 0
		.amdhsa_memory_ordered 1
		.amdhsa_forward_progress 1
		.amdhsa_inst_pref_size 4
		.amdhsa_round_robin_scheduling 0
		.amdhsa_exception_fp_ieee_invalid_op 0
		.amdhsa_exception_fp_denorm_src 0
		.amdhsa_exception_fp_ieee_div_zero 0
		.amdhsa_exception_fp_ieee_overflow 0
		.amdhsa_exception_fp_ieee_underflow 0
		.amdhsa_exception_fp_ieee_inexact 0
		.amdhsa_exception_int_div_zero 0
	.end_amdhsa_kernel
	.text
.Lfunc_end25:
	.size	batched_transpose_4x64_half, .Lfunc_end25-batched_transpose_4x64_half
                                        ; -- End function
	.set batched_transpose_4x64_half.num_vgpr, 8
	.set batched_transpose_4x64_half.num_agpr, 0
	.set batched_transpose_4x64_half.numbered_sgpr, 28
	.set batched_transpose_4x64_half.num_named_barrier, 0
	.set batched_transpose_4x64_half.private_seg_size, 0
	.set batched_transpose_4x64_half.uses_vcc, 1
	.set batched_transpose_4x64_half.uses_flat_scratch, 0
	.set batched_transpose_4x64_half.has_dyn_sized_stack, 0
	.set batched_transpose_4x64_half.has_recursion, 0
	.set batched_transpose_4x64_half.has_indirect_call, 0
	.section	.AMDGPU.csdata,"",@progbits
; Kernel info:
; codeLenInByte = 420
; TotalNumSgprs: 30
; NumVgprs: 8
; ScratchSize: 0
; MemoryBound: 0
; FloatMode: 240
; IeeeMode: 1
; LDSByteSize: 0 bytes/workgroup (compile time only)
; SGPRBlocks: 0
; VGPRBlocks: 0
; NumSGPRsForWavesPerEU: 30
; NumVGPRsForWavesPerEU: 8
; NamedBarCnt: 0
; Occupancy: 16
; WaveLimiterHint : 0
; COMPUTE_PGM_RSRC2:SCRATCH_EN: 0
; COMPUTE_PGM_RSRC2:USER_SGPR: 2
; COMPUTE_PGM_RSRC2:TRAP_HANDLER: 0
; COMPUTE_PGM_RSRC2:TGID_X_EN: 1
; COMPUTE_PGM_RSRC2:TGID_Y_EN: 0
; COMPUTE_PGM_RSRC2:TGID_Z_EN: 0
; COMPUTE_PGM_RSRC2:TIDIG_COMP_CNT: 0
	.text
	.protected	batched_transpose_4x64_byte ; -- Begin function batched_transpose_4x64_byte
	.globl	batched_transpose_4x64_byte
	.p2align	8
	.type	batched_transpose_4x64_byte,@function
batched_transpose_4x64_byte:            ; @batched_transpose_4x64_byte
; %bb.0:
	s_load_b256 s[4:11], s[0:1], 0x10
	s_bfe_u32 s2, ttmp6, 0x4000c
	s_and_b32 s3, ttmp6, 15
	s_add_co_i32 s2, s2, 1
	s_getreg_b32 s12, hwreg(HW_REG_IB_STS2, 6, 4)
	s_mul_i32 s2, ttmp9, s2
	s_delay_alu instid0(SALU_CYCLE_1)
	s_add_co_i32 s3, s3, s2
	s_cmp_eq_u32 s12, 0
	s_cselect_b32 s2, ttmp9, s3
	s_mov_b32 s3, 0
	s_wait_kmcnt 0x0
	s_cmp_ge_u32 s2, s7
	s_cbranch_scc1 .LBB26_7
; %bb.1:
	s_load_b128 s[12:15], s[0:1], 0x0
	v_dual_lshrrev_b32 v1, 6, v0 :: v_dual_bitop2_b32 v4, 63, v0 bitop3:0x40
	s_wait_xcnt 0x0
	s_add_co_i32 s0, s4, 63
	s_mov_b32 s16, s10
	s_lshr_b32 s1, s0, 6
	s_add_co_i32 s0, s5, 3
	v_lshl_or_b32 v5, s2, 2, v1
	v_mov_b32_e32 v1, 0
	s_and_b32 s0, s0, -4
	s_mov_b32 s17, s3
	s_mov_b32 s18, s8
	;; [unrolled: 1-line block ×4, first 2 shown]
	s_sub_co_i32 s10, 0, s0
	s_lshl_b32 s20, s6, 2
                                        ; implicit-def: $vgpr6
	s_branch .LBB26_3
.LBB26_2:                               ;   in Loop: Header=BB26_3 Depth=1
	s_wait_xcnt 0x0
	s_or_b32 exec_lo, exec_lo, s22
	v_add_nc_u32_e32 v5, s20, v5
	s_add_co_i32 s2, s2, s6
	s_delay_alu instid0(SALU_CYCLE_1)
	s_cmp_lt_u32 s2, s7
	s_cbranch_scc0 .LBB26_7
.LBB26_3:                               ; =>This Inner Loop Header: Depth=1
	s_mul_u64 s[22:23], s[16:17], s[2:3]
	v_mov_b32_e32 v3, v1
	s_add_co_i32 s0, s2, s23
	s_mov_b32 s23, s3
	s_lshr_b32 s22, s0, s11
	s_delay_alu instid0(SALU_CYCLE_1) | instskip(SKIP_2) | instid1(SALU_CYCLE_1)
	s_mul_u64 s[24:25], s[22:23], s[18:19]
	v_mad_u32 v2, s10, s22, v5
	s_add_co_i32 s0, s22, s25
	s_lshr_b32 s21, s0, s9
	s_delay_alu instid0(SALU_CYCLE_1) | instskip(NEXT) | instid1(SALU_CYCLE_1)
	s_mul_i32 s0, s21, s1
	s_sub_co_i32 s0, s22, s0
	s_delay_alu instid0(SALU_CYCLE_1) | instskip(NEXT) | instid1(VALU_DEP_2)
	v_lshl_or_b32 v0, s0, 6, v4
	v_cmp_gt_u32_e64 s0, s5, v2
	s_delay_alu instid0(VALU_DEP_2) | instskip(SKIP_1) | instid1(SALU_CYCLE_1)
	v_cmp_gt_u32_e32 vcc_lo, s4, v0
	s_and_b32 s0, s0, vcc_lo
	s_and_saveexec_b32 s22, s0
	s_cbranch_execz .LBB26_5
; %bb.4:                                ;   in Loop: Header=BB26_3 Depth=1
	s_wait_loadcnt 0x0
	v_mad_nc_u64_u32 v[6:7], s21, s4, v[0:1]
	s_wait_kmcnt 0x0
	s_delay_alu instid0(VALU_DEP_1) | instskip(NEXT) | instid1(VALU_DEP_1)
	v_mad_nc_u64_u32 v[8:9], v6, s8, s[14:15]
	v_mad_u32 v9, v7, s8, v9
	s_delay_alu instid0(VALU_DEP_1)
	v_add_nc_u64_e32 v[6:7], v[8:9], v[2:3]
	global_load_u8 v6, v[6:7], off
.LBB26_5:                               ;   in Loop: Header=BB26_3 Depth=1
	s_wait_xcnt 0x0
	s_or_b32 exec_lo, exec_lo, s22
	s_and_saveexec_b32 s22, s0
	s_cbranch_execz .LBB26_2
; %bb.6:                                ;   in Loop: Header=BB26_3 Depth=1
	v_mad_nc_u64_u32 v[2:3], s21, s8, v[2:3]
	s_wait_kmcnt 0x0
	s_delay_alu instid0(VALU_DEP_1) | instskip(NEXT) | instid1(VALU_DEP_1)
	v_mad_nc_u64_u32 v[8:9], v2, s4, s[12:13]
	v_mad_u32 v9, v3, s4, v9
	s_delay_alu instid0(VALU_DEP_1)
	v_add_nc_u64_e32 v[2:3], v[8:9], v[0:1]
	s_wait_loadcnt 0x0
	global_store_b8 v[2:3], v6, off
	s_branch .LBB26_2
.LBB26_7:
	s_endpgm
	.section	.rodata,"a",@progbits
	.p2align	6, 0x0
	.amdhsa_kernel batched_transpose_4x64_byte
		.amdhsa_group_segment_fixed_size 0
		.amdhsa_private_segment_fixed_size 0
		.amdhsa_kernarg_size 48
		.amdhsa_user_sgpr_count 2
		.amdhsa_user_sgpr_dispatch_ptr 0
		.amdhsa_user_sgpr_queue_ptr 0
		.amdhsa_user_sgpr_kernarg_segment_ptr 1
		.amdhsa_user_sgpr_dispatch_id 0
		.amdhsa_user_sgpr_kernarg_preload_length 0
		.amdhsa_user_sgpr_kernarg_preload_offset 0
		.amdhsa_user_sgpr_private_segment_size 0
		.amdhsa_wavefront_size32 1
		.amdhsa_uses_dynamic_stack 0
		.amdhsa_enable_private_segment 0
		.amdhsa_system_sgpr_workgroup_id_x 1
		.amdhsa_system_sgpr_workgroup_id_y 0
		.amdhsa_system_sgpr_workgroup_id_z 0
		.amdhsa_system_sgpr_workgroup_info 0
		.amdhsa_system_vgpr_workitem_id 0
		.amdhsa_next_free_vgpr 10
		.amdhsa_next_free_sgpr 26
		.amdhsa_named_barrier_count 0
		.amdhsa_reserve_vcc 1
		.amdhsa_float_round_mode_32 0
		.amdhsa_float_round_mode_16_64 0
		.amdhsa_float_denorm_mode_32 3
		.amdhsa_float_denorm_mode_16_64 3
		.amdhsa_fp16_overflow 0
		.amdhsa_memory_ordered 1
		.amdhsa_forward_progress 1
		.amdhsa_inst_pref_size 4
		.amdhsa_round_robin_scheduling 0
		.amdhsa_exception_fp_ieee_invalid_op 0
		.amdhsa_exception_fp_denorm_src 0
		.amdhsa_exception_fp_ieee_div_zero 0
		.amdhsa_exception_fp_ieee_overflow 0
		.amdhsa_exception_fp_ieee_underflow 0
		.amdhsa_exception_fp_ieee_inexact 0
		.amdhsa_exception_int_div_zero 0
	.end_amdhsa_kernel
	.text
.Lfunc_end26:
	.size	batched_transpose_4x64_byte, .Lfunc_end26-batched_transpose_4x64_byte
                                        ; -- End function
	.set batched_transpose_4x64_byte.num_vgpr, 10
	.set batched_transpose_4x64_byte.num_agpr, 0
	.set batched_transpose_4x64_byte.numbered_sgpr, 26
	.set batched_transpose_4x64_byte.num_named_barrier, 0
	.set batched_transpose_4x64_byte.private_seg_size, 0
	.set batched_transpose_4x64_byte.uses_vcc, 1
	.set batched_transpose_4x64_byte.uses_flat_scratch, 0
	.set batched_transpose_4x64_byte.has_dyn_sized_stack, 0
	.set batched_transpose_4x64_byte.has_recursion, 0
	.set batched_transpose_4x64_byte.has_indirect_call, 0
	.section	.AMDGPU.csdata,"",@progbits
; Kernel info:
; codeLenInByte = 408
; TotalNumSgprs: 28
; NumVgprs: 10
; ScratchSize: 0
; MemoryBound: 0
; FloatMode: 240
; IeeeMode: 1
; LDSByteSize: 0 bytes/workgroup (compile time only)
; SGPRBlocks: 0
; VGPRBlocks: 0
; NumSGPRsForWavesPerEU: 28
; NumVGPRsForWavesPerEU: 10
; NamedBarCnt: 0
; Occupancy: 16
; WaveLimiterHint : 0
; COMPUTE_PGM_RSRC2:SCRATCH_EN: 0
; COMPUTE_PGM_RSRC2:USER_SGPR: 2
; COMPUTE_PGM_RSRC2:TRAP_HANDLER: 0
; COMPUTE_PGM_RSRC2:TGID_X_EN: 1
; COMPUTE_PGM_RSRC2:TGID_Y_EN: 0
; COMPUTE_PGM_RSRC2:TGID_Z_EN: 0
; COMPUTE_PGM_RSRC2:TIDIG_COMP_CNT: 0
	.text
	.protected	batched_transpose_64x4_dword ; -- Begin function batched_transpose_64x4_dword
	.globl	batched_transpose_64x4_dword
	.p2align	8
	.type	batched_transpose_64x4_dword,@function
batched_transpose_64x4_dword:           ; @batched_transpose_64x4_dword
; %bb.0:
	s_load_b256 s[4:11], s[0:1], 0x10
	s_bfe_u32 s2, ttmp6, 0x4000c
	s_and_b32 s3, ttmp6, 15
	s_add_co_i32 s2, s2, 1
	s_getreg_b32 s12, hwreg(HW_REG_IB_STS2, 6, 4)
	s_mul_i32 s2, ttmp9, s2
	s_delay_alu instid0(SALU_CYCLE_1)
	s_add_co_i32 s3, s3, s2
	s_cmp_eq_u32 s12, 0
	s_cselect_b32 s2, ttmp9, s3
	s_mov_b32 s3, 0
	s_wait_kmcnt 0x0
	s_cmp_ge_u32 s2, s7
	s_cbranch_scc1 .LBB27_7
; %bb.1:
	s_load_b128 s[12:15], s[0:1], 0x0
	v_dual_lshrrev_b32 v4, 6, v0 :: v_dual_bitop2_b32 v1, 63, v0 bitop3:0x40
	s_wait_xcnt 0x0
	s_add_co_i32 s0, s4, 3
	s_mov_b32 s16, s10
	s_lshr_b32 s1, s0, 2
	s_add_co_i32 s0, s5, 63
	v_lshl_or_b32 v5, s2, 6, v1
	v_mov_b32_e32 v1, 0
	s_and_not1_b32 s0, s0, 63
	s_mov_b32 s17, s3
	s_mov_b32 s18, s8
	;; [unrolled: 1-line block ×7, first 2 shown]
	s_sub_co_i32 s8, 0, s0
	s_lshl_b32 s10, s6, 6
                                        ; implicit-def: $vgpr6
	s_branch .LBB27_3
.LBB27_2:                               ;   in Loop: Header=BB27_3 Depth=1
	s_wait_xcnt 0x0
	s_or_b32 exec_lo, exec_lo, s25
	v_add_nc_u32_e32 v5, s10, v5
	s_add_co_i32 s2, s2, s6
	s_delay_alu instid0(SALU_CYCLE_1)
	s_cmp_lt_u32 s2, s7
	s_cbranch_scc0 .LBB27_7
.LBB27_3:                               ; =>This Inner Loop Header: Depth=1
	s_mul_u64 s[24:25], s[16:17], s[2:3]
	s_mov_b32 s27, s3
	s_add_co_i32 s0, s2, s25
	v_mov_b32_e32 v3, v1
	s_lshr_b32 s26, s0, s11
	s_delay_alu instid0(SALU_CYCLE_1) | instskip(SKIP_2) | instid1(SALU_CYCLE_1)
	s_mul_u64 s[24:25], s[26:27], s[18:19]
	v_mad_u32 v2, s8, s26, v5
	s_add_co_i32 s0, s26, s25
	s_lshr_b32 s24, s0, s9
	s_delay_alu instid0(SALU_CYCLE_1) | instskip(NEXT) | instid1(SALU_CYCLE_1)
	s_mul_i32 s0, s24, s1
	s_sub_co_i32 s0, s26, s0
	s_delay_alu instid0(SALU_CYCLE_1) | instskip(NEXT) | instid1(VALU_DEP_2)
	v_lshl_or_b32 v0, s0, 2, v4
	v_cmp_gt_u32_e64 s0, s5, v2
	s_delay_alu instid0(VALU_DEP_2) | instskip(SKIP_1) | instid1(SALU_CYCLE_1)
	v_cmp_gt_u32_e32 vcc_lo, s4, v0
	s_and_b32 s0, vcc_lo, s0
	s_and_saveexec_b32 s25, s0
	s_cbranch_execz .LBB27_5
; %bb.4:                                ;   in Loop: Header=BB27_3 Depth=1
	s_wait_loadcnt 0x0
	v_mad_nc_u64_u32 v[6:7], s24, s20, v[0:1]
	s_delay_alu instid0(VALU_DEP_1) | instskip(SKIP_1) | instid1(VALU_DEP_1)
	v_mul_u64_e32 v[6:7], s[22:23], v[6:7]
	s_wait_kmcnt 0x0
	v_lshl_add_u64 v[6:7], v[6:7], 2, s[14:15]
	s_delay_alu instid0(VALU_DEP_1)
	v_lshl_add_u64 v[6:7], v[2:3], 2, v[6:7]
	global_load_b32 v6, v[6:7], off
.LBB27_5:                               ;   in Loop: Header=BB27_3 Depth=1
	s_wait_xcnt 0x0
	s_or_b32 exec_lo, exec_lo, s25
	s_and_saveexec_b32 s25, s0
	s_cbranch_execz .LBB27_2
; %bb.6:                                ;   in Loop: Header=BB27_3 Depth=1
	v_mad_nc_u64_u32 v[2:3], s24, s22, v[2:3]
	s_delay_alu instid0(VALU_DEP_1) | instskip(SKIP_1) | instid1(VALU_DEP_1)
	v_mul_u64_e32 v[2:3], s[20:21], v[2:3]
	s_wait_kmcnt 0x0
	v_lshl_add_u64 v[2:3], v[2:3], 2, s[12:13]
	s_delay_alu instid0(VALU_DEP_1)
	v_lshl_add_u64 v[2:3], v[0:1], 2, v[2:3]
	s_wait_loadcnt 0x0
	global_store_b32 v[2:3], v6, off
	s_branch .LBB27_2
.LBB27_7:
	s_endpgm
	.section	.rodata,"a",@progbits
	.p2align	6, 0x0
	.amdhsa_kernel batched_transpose_64x4_dword
		.amdhsa_group_segment_fixed_size 0
		.amdhsa_private_segment_fixed_size 0
		.amdhsa_kernarg_size 48
		.amdhsa_user_sgpr_count 2
		.amdhsa_user_sgpr_dispatch_ptr 0
		.amdhsa_user_sgpr_queue_ptr 0
		.amdhsa_user_sgpr_kernarg_segment_ptr 1
		.amdhsa_user_sgpr_dispatch_id 0
		.amdhsa_user_sgpr_kernarg_preload_length 0
		.amdhsa_user_sgpr_kernarg_preload_offset 0
		.amdhsa_user_sgpr_private_segment_size 0
		.amdhsa_wavefront_size32 1
		.amdhsa_uses_dynamic_stack 0
		.amdhsa_enable_private_segment 0
		.amdhsa_system_sgpr_workgroup_id_x 1
		.amdhsa_system_sgpr_workgroup_id_y 0
		.amdhsa_system_sgpr_workgroup_id_z 0
		.amdhsa_system_sgpr_workgroup_info 0
		.amdhsa_system_vgpr_workitem_id 0
		.amdhsa_next_free_vgpr 8
		.amdhsa_next_free_sgpr 28
		.amdhsa_named_barrier_count 0
		.amdhsa_reserve_vcc 1
		.amdhsa_float_round_mode_32 0
		.amdhsa_float_round_mode_16_64 0
		.amdhsa_float_denorm_mode_32 3
		.amdhsa_float_denorm_mode_16_64 3
		.amdhsa_fp16_overflow 0
		.amdhsa_memory_ordered 1
		.amdhsa_forward_progress 1
		.amdhsa_inst_pref_size 4
		.amdhsa_round_robin_scheduling 0
		.amdhsa_exception_fp_ieee_invalid_op 0
		.amdhsa_exception_fp_denorm_src 0
		.amdhsa_exception_fp_ieee_div_zero 0
		.amdhsa_exception_fp_ieee_overflow 0
		.amdhsa_exception_fp_ieee_underflow 0
		.amdhsa_exception_fp_ieee_inexact 0
		.amdhsa_exception_int_div_zero 0
	.end_amdhsa_kernel
	.text
.Lfunc_end27:
	.size	batched_transpose_64x4_dword, .Lfunc_end27-batched_transpose_64x4_dword
                                        ; -- End function
	.set batched_transpose_64x4_dword.num_vgpr, 8
	.set batched_transpose_64x4_dword.num_agpr, 0
	.set batched_transpose_64x4_dword.numbered_sgpr, 28
	.set batched_transpose_64x4_dword.num_named_barrier, 0
	.set batched_transpose_64x4_dword.private_seg_size, 0
	.set batched_transpose_64x4_dword.uses_vcc, 1
	.set batched_transpose_64x4_dword.uses_flat_scratch, 0
	.set batched_transpose_64x4_dword.has_dyn_sized_stack, 0
	.set batched_transpose_64x4_dword.has_recursion, 0
	.set batched_transpose_64x4_dword.has_indirect_call, 0
	.section	.AMDGPU.csdata,"",@progbits
; Kernel info:
; codeLenInByte = 420
; TotalNumSgprs: 30
; NumVgprs: 8
; ScratchSize: 0
; MemoryBound: 0
; FloatMode: 240
; IeeeMode: 1
; LDSByteSize: 0 bytes/workgroup (compile time only)
; SGPRBlocks: 0
; VGPRBlocks: 0
; NumSGPRsForWavesPerEU: 30
; NumVGPRsForWavesPerEU: 8
; NamedBarCnt: 0
; Occupancy: 16
; WaveLimiterHint : 0
; COMPUTE_PGM_RSRC2:SCRATCH_EN: 0
; COMPUTE_PGM_RSRC2:USER_SGPR: 2
; COMPUTE_PGM_RSRC2:TRAP_HANDLER: 0
; COMPUTE_PGM_RSRC2:TGID_X_EN: 1
; COMPUTE_PGM_RSRC2:TGID_Y_EN: 0
; COMPUTE_PGM_RSRC2:TGID_Z_EN: 0
; COMPUTE_PGM_RSRC2:TIDIG_COMP_CNT: 0
	.text
	.protected	batched_transpose_64x4_half ; -- Begin function batched_transpose_64x4_half
	.globl	batched_transpose_64x4_half
	.p2align	8
	.type	batched_transpose_64x4_half,@function
batched_transpose_64x4_half:            ; @batched_transpose_64x4_half
; %bb.0:
	s_load_b256 s[4:11], s[0:1], 0x10
	s_bfe_u32 s2, ttmp6, 0x4000c
	s_and_b32 s3, ttmp6, 15
	s_add_co_i32 s2, s2, 1
	s_getreg_b32 s12, hwreg(HW_REG_IB_STS2, 6, 4)
	s_mul_i32 s2, ttmp9, s2
	s_delay_alu instid0(SALU_CYCLE_1)
	s_add_co_i32 s3, s3, s2
	s_cmp_eq_u32 s12, 0
	s_cselect_b32 s2, ttmp9, s3
	s_mov_b32 s3, 0
	s_wait_kmcnt 0x0
	s_cmp_ge_u32 s2, s7
	s_cbranch_scc1 .LBB28_7
; %bb.1:
	s_load_b128 s[12:15], s[0:1], 0x0
	v_dual_lshrrev_b32 v4, 6, v0 :: v_dual_bitop2_b32 v1, 63, v0 bitop3:0x40
	s_wait_xcnt 0x0
	s_add_co_i32 s0, s4, 3
	s_mov_b32 s16, s10
	s_lshr_b32 s1, s0, 2
	s_add_co_i32 s0, s5, 63
	v_lshl_or_b32 v5, s2, 6, v1
	v_mov_b32_e32 v1, 0
	s_and_not1_b32 s0, s0, 63
	s_mov_b32 s17, s3
	s_mov_b32 s18, s8
	s_mov_b32 s19, s3
	s_mov_b32 s20, s4
	s_mov_b32 s21, s3
	s_mov_b32 s22, s5
	s_mov_b32 s23, s3
	s_sub_co_i32 s8, 0, s0
	s_lshl_b32 s10, s6, 6
                                        ; implicit-def: $vgpr6
	s_branch .LBB28_3
.LBB28_2:                               ;   in Loop: Header=BB28_3 Depth=1
	s_wait_xcnt 0x0
	s_or_b32 exec_lo, exec_lo, s25
	v_add_nc_u32_e32 v5, s10, v5
	s_add_co_i32 s2, s2, s6
	s_delay_alu instid0(SALU_CYCLE_1)
	s_cmp_lt_u32 s2, s7
	s_cbranch_scc0 .LBB28_7
.LBB28_3:                               ; =>This Inner Loop Header: Depth=1
	s_mul_u64 s[24:25], s[16:17], s[2:3]
	s_mov_b32 s27, s3
	s_add_co_i32 s0, s2, s25
	v_mov_b32_e32 v3, v1
	s_lshr_b32 s26, s0, s11
	s_delay_alu instid0(SALU_CYCLE_1) | instskip(SKIP_2) | instid1(SALU_CYCLE_1)
	s_mul_u64 s[24:25], s[26:27], s[18:19]
	v_mad_u32 v2, s8, s26, v5
	s_add_co_i32 s0, s26, s25
	s_lshr_b32 s24, s0, s9
	s_delay_alu instid0(SALU_CYCLE_1) | instskip(NEXT) | instid1(SALU_CYCLE_1)
	s_mul_i32 s0, s24, s1
	s_sub_co_i32 s0, s26, s0
	s_delay_alu instid0(SALU_CYCLE_1) | instskip(NEXT) | instid1(VALU_DEP_2)
	v_lshl_or_b32 v0, s0, 2, v4
	v_cmp_gt_u32_e64 s0, s5, v2
	s_delay_alu instid0(VALU_DEP_2) | instskip(SKIP_1) | instid1(SALU_CYCLE_1)
	v_cmp_gt_u32_e32 vcc_lo, s4, v0
	s_and_b32 s0, vcc_lo, s0
	s_and_saveexec_b32 s25, s0
	s_cbranch_execz .LBB28_5
; %bb.4:                                ;   in Loop: Header=BB28_3 Depth=1
	s_wait_loadcnt 0x0
	v_mad_nc_u64_u32 v[6:7], s24, s20, v[0:1]
	s_delay_alu instid0(VALU_DEP_1) | instskip(SKIP_1) | instid1(VALU_DEP_1)
	v_mul_u64_e32 v[6:7], s[22:23], v[6:7]
	s_wait_kmcnt 0x0
	v_lshl_add_u64 v[6:7], v[6:7], 1, s[14:15]
	s_delay_alu instid0(VALU_DEP_1)
	v_lshl_add_u64 v[6:7], v[2:3], 1, v[6:7]
	global_load_u16 v6, v[6:7], off
.LBB28_5:                               ;   in Loop: Header=BB28_3 Depth=1
	s_wait_xcnt 0x0
	s_or_b32 exec_lo, exec_lo, s25
	s_and_saveexec_b32 s25, s0
	s_cbranch_execz .LBB28_2
; %bb.6:                                ;   in Loop: Header=BB28_3 Depth=1
	v_mad_nc_u64_u32 v[2:3], s24, s22, v[2:3]
	s_delay_alu instid0(VALU_DEP_1) | instskip(SKIP_1) | instid1(VALU_DEP_1)
	v_mul_u64_e32 v[2:3], s[20:21], v[2:3]
	s_wait_kmcnt 0x0
	v_lshl_add_u64 v[2:3], v[2:3], 1, s[12:13]
	s_delay_alu instid0(VALU_DEP_1)
	v_lshl_add_u64 v[2:3], v[0:1], 1, v[2:3]
	s_wait_loadcnt 0x0
	global_store_b16 v[2:3], v6, off
	s_branch .LBB28_2
.LBB28_7:
	s_endpgm
	.section	.rodata,"a",@progbits
	.p2align	6, 0x0
	.amdhsa_kernel batched_transpose_64x4_half
		.amdhsa_group_segment_fixed_size 0
		.amdhsa_private_segment_fixed_size 0
		.amdhsa_kernarg_size 48
		.amdhsa_user_sgpr_count 2
		.amdhsa_user_sgpr_dispatch_ptr 0
		.amdhsa_user_sgpr_queue_ptr 0
		.amdhsa_user_sgpr_kernarg_segment_ptr 1
		.amdhsa_user_sgpr_dispatch_id 0
		.amdhsa_user_sgpr_kernarg_preload_length 0
		.amdhsa_user_sgpr_kernarg_preload_offset 0
		.amdhsa_user_sgpr_private_segment_size 0
		.amdhsa_wavefront_size32 1
		.amdhsa_uses_dynamic_stack 0
		.amdhsa_enable_private_segment 0
		.amdhsa_system_sgpr_workgroup_id_x 1
		.amdhsa_system_sgpr_workgroup_id_y 0
		.amdhsa_system_sgpr_workgroup_id_z 0
		.amdhsa_system_sgpr_workgroup_info 0
		.amdhsa_system_vgpr_workitem_id 0
		.amdhsa_next_free_vgpr 8
		.amdhsa_next_free_sgpr 28
		.amdhsa_named_barrier_count 0
		.amdhsa_reserve_vcc 1
		.amdhsa_float_round_mode_32 0
		.amdhsa_float_round_mode_16_64 0
		.amdhsa_float_denorm_mode_32 3
		.amdhsa_float_denorm_mode_16_64 3
		.amdhsa_fp16_overflow 0
		.amdhsa_memory_ordered 1
		.amdhsa_forward_progress 1
		.amdhsa_inst_pref_size 4
		.amdhsa_round_robin_scheduling 0
		.amdhsa_exception_fp_ieee_invalid_op 0
		.amdhsa_exception_fp_denorm_src 0
		.amdhsa_exception_fp_ieee_div_zero 0
		.amdhsa_exception_fp_ieee_overflow 0
		.amdhsa_exception_fp_ieee_underflow 0
		.amdhsa_exception_fp_ieee_inexact 0
		.amdhsa_exception_int_div_zero 0
	.end_amdhsa_kernel
	.text
.Lfunc_end28:
	.size	batched_transpose_64x4_half, .Lfunc_end28-batched_transpose_64x4_half
                                        ; -- End function
	.set batched_transpose_64x4_half.num_vgpr, 8
	.set batched_transpose_64x4_half.num_agpr, 0
	.set batched_transpose_64x4_half.numbered_sgpr, 28
	.set batched_transpose_64x4_half.num_named_barrier, 0
	.set batched_transpose_64x4_half.private_seg_size, 0
	.set batched_transpose_64x4_half.uses_vcc, 1
	.set batched_transpose_64x4_half.uses_flat_scratch, 0
	.set batched_transpose_64x4_half.has_dyn_sized_stack, 0
	.set batched_transpose_64x4_half.has_recursion, 0
	.set batched_transpose_64x4_half.has_indirect_call, 0
	.section	.AMDGPU.csdata,"",@progbits
; Kernel info:
; codeLenInByte = 420
; TotalNumSgprs: 30
; NumVgprs: 8
; ScratchSize: 0
; MemoryBound: 0
; FloatMode: 240
; IeeeMode: 1
; LDSByteSize: 0 bytes/workgroup (compile time only)
; SGPRBlocks: 0
; VGPRBlocks: 0
; NumSGPRsForWavesPerEU: 30
; NumVGPRsForWavesPerEU: 8
; NamedBarCnt: 0
; Occupancy: 16
; WaveLimiterHint : 0
; COMPUTE_PGM_RSRC2:SCRATCH_EN: 0
; COMPUTE_PGM_RSRC2:USER_SGPR: 2
; COMPUTE_PGM_RSRC2:TRAP_HANDLER: 0
; COMPUTE_PGM_RSRC2:TGID_X_EN: 1
; COMPUTE_PGM_RSRC2:TGID_Y_EN: 0
; COMPUTE_PGM_RSRC2:TGID_Z_EN: 0
; COMPUTE_PGM_RSRC2:TIDIG_COMP_CNT: 0
	.text
	.protected	batched_transpose_64x4_byte ; -- Begin function batched_transpose_64x4_byte
	.globl	batched_transpose_64x4_byte
	.p2align	8
	.type	batched_transpose_64x4_byte,@function
batched_transpose_64x4_byte:            ; @batched_transpose_64x4_byte
; %bb.0:
	s_load_b256 s[4:11], s[0:1], 0x10
	s_bfe_u32 s2, ttmp6, 0x4000c
	s_and_b32 s3, ttmp6, 15
	s_add_co_i32 s2, s2, 1
	s_getreg_b32 s12, hwreg(HW_REG_IB_STS2, 6, 4)
	s_mul_i32 s2, ttmp9, s2
	s_delay_alu instid0(SALU_CYCLE_1)
	s_add_co_i32 s3, s3, s2
	s_cmp_eq_u32 s12, 0
	s_cselect_b32 s2, ttmp9, s3
	s_mov_b32 s3, 0
	s_wait_kmcnt 0x0
	s_cmp_ge_u32 s2, s7
	s_cbranch_scc1 .LBB29_7
; %bb.1:
	s_load_b128 s[12:15], s[0:1], 0x0
	v_dual_lshrrev_b32 v4, 6, v0 :: v_dual_bitop2_b32 v1, 63, v0 bitop3:0x40
	s_wait_xcnt 0x0
	s_add_co_i32 s0, s4, 3
	s_mov_b32 s16, s10
	s_lshr_b32 s1, s0, 2
	s_add_co_i32 s0, s5, 63
	v_lshl_or_b32 v5, s2, 6, v1
	v_mov_b32_e32 v1, 0
	s_and_not1_b32 s0, s0, 63
	s_mov_b32 s17, s3
	s_mov_b32 s18, s8
	;; [unrolled: 1-line block ×4, first 2 shown]
	s_sub_co_i32 s10, 0, s0
	s_lshl_b32 s20, s6, 6
                                        ; implicit-def: $vgpr6
	s_branch .LBB29_3
.LBB29_2:                               ;   in Loop: Header=BB29_3 Depth=1
	s_wait_xcnt 0x0
	s_or_b32 exec_lo, exec_lo, s22
	v_add_nc_u32_e32 v5, s20, v5
	s_add_co_i32 s2, s2, s6
	s_delay_alu instid0(SALU_CYCLE_1)
	s_cmp_lt_u32 s2, s7
	s_cbranch_scc0 .LBB29_7
.LBB29_3:                               ; =>This Inner Loop Header: Depth=1
	s_mul_u64 s[22:23], s[16:17], s[2:3]
	v_mov_b32_e32 v3, v1
	s_add_co_i32 s0, s2, s23
	s_mov_b32 s23, s3
	s_lshr_b32 s22, s0, s11
	s_delay_alu instid0(SALU_CYCLE_1) | instskip(SKIP_2) | instid1(SALU_CYCLE_1)
	s_mul_u64 s[24:25], s[22:23], s[18:19]
	v_mad_u32 v2, s10, s22, v5
	s_add_co_i32 s0, s22, s25
	s_lshr_b32 s21, s0, s9
	s_delay_alu instid0(SALU_CYCLE_1) | instskip(NEXT) | instid1(SALU_CYCLE_1)
	s_mul_i32 s0, s21, s1
	s_sub_co_i32 s0, s22, s0
	s_delay_alu instid0(SALU_CYCLE_1) | instskip(NEXT) | instid1(VALU_DEP_2)
	v_lshl_or_b32 v0, s0, 2, v4
	v_cmp_gt_u32_e64 s0, s5, v2
	s_delay_alu instid0(VALU_DEP_2) | instskip(SKIP_1) | instid1(SALU_CYCLE_1)
	v_cmp_gt_u32_e32 vcc_lo, s4, v0
	s_and_b32 s0, vcc_lo, s0
	s_and_saveexec_b32 s22, s0
	s_cbranch_execz .LBB29_5
; %bb.4:                                ;   in Loop: Header=BB29_3 Depth=1
	s_wait_loadcnt 0x0
	v_mad_nc_u64_u32 v[6:7], s21, s4, v[0:1]
	s_wait_kmcnt 0x0
	s_delay_alu instid0(VALU_DEP_1) | instskip(NEXT) | instid1(VALU_DEP_1)
	v_mad_nc_u64_u32 v[8:9], v6, s8, s[14:15]
	v_mad_u32 v9, v7, s8, v9
	s_delay_alu instid0(VALU_DEP_1)
	v_add_nc_u64_e32 v[6:7], v[8:9], v[2:3]
	global_load_u8 v6, v[6:7], off
.LBB29_5:                               ;   in Loop: Header=BB29_3 Depth=1
	s_wait_xcnt 0x0
	s_or_b32 exec_lo, exec_lo, s22
	s_and_saveexec_b32 s22, s0
	s_cbranch_execz .LBB29_2
; %bb.6:                                ;   in Loop: Header=BB29_3 Depth=1
	v_mad_nc_u64_u32 v[2:3], s21, s8, v[2:3]
	s_wait_kmcnt 0x0
	s_delay_alu instid0(VALU_DEP_1) | instskip(NEXT) | instid1(VALU_DEP_1)
	v_mad_nc_u64_u32 v[8:9], v2, s4, s[12:13]
	v_mad_u32 v9, v3, s4, v9
	s_delay_alu instid0(VALU_DEP_1)
	v_add_nc_u64_e32 v[2:3], v[8:9], v[0:1]
	s_wait_loadcnt 0x0
	global_store_b8 v[2:3], v6, off
	s_branch .LBB29_2
.LBB29_7:
	s_endpgm
	.section	.rodata,"a",@progbits
	.p2align	6, 0x0
	.amdhsa_kernel batched_transpose_64x4_byte
		.amdhsa_group_segment_fixed_size 0
		.amdhsa_private_segment_fixed_size 0
		.amdhsa_kernarg_size 48
		.amdhsa_user_sgpr_count 2
		.amdhsa_user_sgpr_dispatch_ptr 0
		.amdhsa_user_sgpr_queue_ptr 0
		.amdhsa_user_sgpr_kernarg_segment_ptr 1
		.amdhsa_user_sgpr_dispatch_id 0
		.amdhsa_user_sgpr_kernarg_preload_length 0
		.amdhsa_user_sgpr_kernarg_preload_offset 0
		.amdhsa_user_sgpr_private_segment_size 0
		.amdhsa_wavefront_size32 1
		.amdhsa_uses_dynamic_stack 0
		.amdhsa_enable_private_segment 0
		.amdhsa_system_sgpr_workgroup_id_x 1
		.amdhsa_system_sgpr_workgroup_id_y 0
		.amdhsa_system_sgpr_workgroup_id_z 0
		.amdhsa_system_sgpr_workgroup_info 0
		.amdhsa_system_vgpr_workitem_id 0
		.amdhsa_next_free_vgpr 10
		.amdhsa_next_free_sgpr 26
		.amdhsa_named_barrier_count 0
		.amdhsa_reserve_vcc 1
		.amdhsa_float_round_mode_32 0
		.amdhsa_float_round_mode_16_64 0
		.amdhsa_float_denorm_mode_32 3
		.amdhsa_float_denorm_mode_16_64 3
		.amdhsa_fp16_overflow 0
		.amdhsa_memory_ordered 1
		.amdhsa_forward_progress 1
		.amdhsa_inst_pref_size 4
		.amdhsa_round_robin_scheduling 0
		.amdhsa_exception_fp_ieee_invalid_op 0
		.amdhsa_exception_fp_denorm_src 0
		.amdhsa_exception_fp_ieee_div_zero 0
		.amdhsa_exception_fp_ieee_overflow 0
		.amdhsa_exception_fp_ieee_underflow 0
		.amdhsa_exception_fp_ieee_inexact 0
		.amdhsa_exception_int_div_zero 0
	.end_amdhsa_kernel
	.text
.Lfunc_end29:
	.size	batched_transpose_64x4_byte, .Lfunc_end29-batched_transpose_64x4_byte
                                        ; -- End function
	.set batched_transpose_64x4_byte.num_vgpr, 10
	.set batched_transpose_64x4_byte.num_agpr, 0
	.set batched_transpose_64x4_byte.numbered_sgpr, 26
	.set batched_transpose_64x4_byte.num_named_barrier, 0
	.set batched_transpose_64x4_byte.private_seg_size, 0
	.set batched_transpose_64x4_byte.uses_vcc, 1
	.set batched_transpose_64x4_byte.uses_flat_scratch, 0
	.set batched_transpose_64x4_byte.has_dyn_sized_stack, 0
	.set batched_transpose_64x4_byte.has_recursion, 0
	.set batched_transpose_64x4_byte.has_indirect_call, 0
	.section	.AMDGPU.csdata,"",@progbits
; Kernel info:
; codeLenInByte = 408
; TotalNumSgprs: 28
; NumVgprs: 10
; ScratchSize: 0
; MemoryBound: 0
; FloatMode: 240
; IeeeMode: 1
; LDSByteSize: 0 bytes/workgroup (compile time only)
; SGPRBlocks: 0
; VGPRBlocks: 0
; NumSGPRsForWavesPerEU: 28
; NumVGPRsForWavesPerEU: 10
; NamedBarCnt: 0
; Occupancy: 16
; WaveLimiterHint : 0
; COMPUTE_PGM_RSRC2:SCRATCH_EN: 0
; COMPUTE_PGM_RSRC2:USER_SGPR: 2
; COMPUTE_PGM_RSRC2:TRAP_HANDLER: 0
; COMPUTE_PGM_RSRC2:TGID_X_EN: 1
; COMPUTE_PGM_RSRC2:TGID_Y_EN: 0
; COMPUTE_PGM_RSRC2:TGID_Z_EN: 0
; COMPUTE_PGM_RSRC2:TIDIG_COMP_CNT: 0
	.text
	.protected	batched_transpose_32x32_pack_2x2_ediv_2x2_half ; -- Begin function batched_transpose_32x32_pack_2x2_ediv_2x2_half
	.globl	batched_transpose_32x32_pack_2x2_ediv_2x2_half
	.p2align	8
	.type	batched_transpose_32x32_pack_2x2_ediv_2x2_half,@function
batched_transpose_32x32_pack_2x2_ediv_2x2_half: ; @batched_transpose_32x32_pack_2x2_ediv_2x2_half
; %bb.0:
	s_load_b256 s[4:11], s[0:1], 0x10
	s_bfe_u32 s2, ttmp6, 0x4000c
	s_and_b32 s3, ttmp6, 15
	s_add_co_i32 s2, s2, 1
	s_getreg_b32 s12, hwreg(HW_REG_IB_STS2, 6, 4)
	s_mul_i32 s2, ttmp9, s2
	s_delay_alu instid0(SALU_CYCLE_1)
	s_add_co_i32 s3, s3, s2
	s_cmp_eq_u32 s12, 0
	s_cselect_b32 s2, ttmp9, s3
	s_mov_b32 s3, 0
	s_wait_kmcnt 0x0
	s_cmp_ge_u32 s2, s7
	s_cbranch_scc1 .LBB30_7
; %bb.1:
	s_load_b128 s[12:15], s[0:1], 0x0
	v_dual_lshrrev_b32 v1, 4, v0 :: v_dual_bitop2_b32 v4, 15, v0 bitop3:0x40
	s_wait_xcnt 0x0
	s_add_co_i32 s0, s4, 31
	s_mov_b32 s20, s10
	s_lshr_b32 s1, s0, 5
	v_dual_lshlrev_b32 v0, 2, v1 :: v_dual_lshlrev_b32 v2, 2, v4
	v_lshlrev_b32_e32 v5, 1, v1
	s_add_co_i32 s0, s5, 31
	v_lshl_or_b32 v9, s2, 4, v4
	s_and_b32 s10, s0, 0xffffffe0
	s_lshr_b32 s0, s0, 1
	v_mad_u32_u24 v6, 0x44, v4, v0
	v_mad_u32_u24 v7, 0x44, v1, v2
	v_mov_b32_e32 v1, 0
	v_lshl_or_b32 v8, s2, 5, v5
	s_and_b32 s0, s0, 0x7ffffff0
	s_lshr_b32 s16, s4, 1
	s_lshr_b32 s18, s5, 1
	s_mov_b32 s21, s3
	s_mov_b32 s22, s8
	;; [unrolled: 1-line block ×6, first 2 shown]
	s_sub_co_i32 s10, 0, s10
	s_lshl_b32 s26, s6, 5
	s_sub_co_i32 s27, 0, s0
	s_lshl_b32 s28, s6, 4
	s_branch .LBB30_3
.LBB30_2:                               ;   in Loop: Header=BB30_3 Depth=1
	s_wait_xcnt 0x0
	s_or_b32 exec_lo, exec_lo, s0
	v_dual_add_nc_u32 v8, s26, v8 :: v_dual_add_nc_u32 v9, s28, v9
	s_add_co_i32 s2, s2, s6
	s_delay_alu instid0(SALU_CYCLE_1)
	s_cmp_lt_u32 s2, s7
	s_cbranch_scc0 .LBB30_7
.LBB30_3:                               ; =>This Inner Loop Header: Depth=1
	s_mul_u64 s[24:25], s[20:21], s[2:3]
	s_delay_alu instid0(SALU_CYCLE_1)
	s_add_co_i32 s0, s2, s25
	s_mov_b32 s25, s3
	s_lshr_b32 s24, s0, s11
	s_barrier_signal -1
	s_mul_u64 s[30:31], s[24:25], s[22:23]
	v_mad_u32 v2, s27, s24, v9
	s_add_co_i32 s0, s24, s31
	s_barrier_wait -1
	s_lshr_b32 s25, s0, s9
	s_delay_alu instid0(SALU_CYCLE_1) | instskip(NEXT) | instid1(SALU_CYCLE_1)
	s_mul_i32 s0, s25, s1
	s_sub_co_i32 s29, s24, s0
	s_delay_alu instid0(SALU_CYCLE_1) | instskip(NEXT) | instid1(VALU_DEP_2)
	v_lshl_or_b32 v0, s29, 5, v5
	v_cmp_gt_u32_e64 s0, s18, v2
	s_delay_alu instid0(VALU_DEP_2) | instskip(SKIP_1) | instid1(SALU_CYCLE_1)
	v_cmp_gt_u32_e32 vcc_lo, s4, v0
	s_and_b32 s30, vcc_lo, s0
	s_and_saveexec_b32 s0, s30
	s_cbranch_execz .LBB30_5
; %bb.4:                                ;   in Loop: Header=BB30_3 Depth=1
	v_mad_nc_u64_u32 v[10:11], s25, s4, v[0:1]
	v_mov_b32_e32 v3, v1
	s_delay_alu instid0(VALU_DEP_2) | instskip(SKIP_1) | instid1(VALU_DEP_1)
	v_mul_u64_e32 v[10:11], s[18:19], v[10:11]
	s_wait_kmcnt 0x0
	v_lshl_add_u64 v[10:11], v[10:11], 2, s[14:15]
	s_delay_alu instid0(VALU_DEP_1) | instskip(NEXT) | instid1(VALU_DEP_1)
	v_lshl_add_u64 v[2:3], v[2:3], 2, v[10:11]
	v_lshl_add_u64 v[10:11], s[18:19], 2, v[2:3]
	s_clause 0x1
	global_load_b32 v0, v[2:3], off
	global_load_b32 v12, v[10:11], off
	s_wait_loadcnt 0x1
	s_wait_xcnt 0x1
	v_and_b32_e32 v2, 0xffff, v0
	v_lshrrev_b32_e32 v0, 16, v0
	s_wait_loadcnt 0x0
	s_delay_alu instid0(VALU_DEP_2) | instskip(NEXT) | instid1(VALU_DEP_2)
	v_lshl_or_b32 v2, v12, 16, v2
	v_and_or_b32 v0, 0xffff0000, v12, v0
	ds_store_b32 v6, v2
	ds_store_b32 v6, v0 offset:1088
.LBB30_5:                               ;   in Loop: Header=BB30_3 Depth=1
	s_wait_xcnt 0x0
	s_or_b32 exec_lo, exec_lo, s0
	v_mad_u32 v0, s10, s24, v8
	v_lshl_or_b32 v2, s29, 4, v4
	s_wait_dscnt 0x0
	s_barrier_signal -1
	s_barrier_wait -1
	s_delay_alu instid0(VALU_DEP_1) | instskip(NEXT) | instid1(VALU_DEP_3)
	v_cmp_gt_u32_e32 vcc_lo, s16, v2
	v_cmp_gt_u32_e64 s0, s5, v0
	s_and_b32 s24, s0, vcc_lo
	s_delay_alu instid0(SALU_CYCLE_1)
	s_and_saveexec_b32 s0, s24
	s_cbranch_execz .LBB30_2
; %bb.6:                                ;   in Loop: Header=BB30_3 Depth=1
	v_mad_nc_u64_u32 v[10:11], s25, s8, v[0:1]
	ds_load_b32 v0, v7
	ds_load_b32 v12, v7 offset:1088
	v_mov_b32_e32 v3, v1
	v_mul_u64_e32 v[10:11], s[16:17], v[10:11]
	s_wait_kmcnt 0x0
	s_delay_alu instid0(VALU_DEP_1) | instskip(NEXT) | instid1(VALU_DEP_1)
	v_lshl_add_u64 v[10:11], v[10:11], 2, s[12:13]
	v_lshl_add_u64 v[2:3], v[2:3], 2, v[10:11]
	s_delay_alu instid0(VALU_DEP_1)
	v_lshl_add_u64 v[10:11], s[16:17], 2, v[2:3]
	s_wait_dscnt 0x1
	global_store_b32 v[2:3], v0, off
	s_wait_dscnt 0x0
	global_store_b32 v[10:11], v12, off
	s_branch .LBB30_2
.LBB30_7:
	s_endpgm
	.section	.rodata,"a",@progbits
	.p2align	6, 0x0
	.amdhsa_kernel batched_transpose_32x32_pack_2x2_ediv_2x2_half
		.amdhsa_group_segment_fixed_size 2176
		.amdhsa_private_segment_fixed_size 0
		.amdhsa_kernarg_size 48
		.amdhsa_user_sgpr_count 2
		.amdhsa_user_sgpr_dispatch_ptr 0
		.amdhsa_user_sgpr_queue_ptr 0
		.amdhsa_user_sgpr_kernarg_segment_ptr 1
		.amdhsa_user_sgpr_dispatch_id 0
		.amdhsa_user_sgpr_kernarg_preload_length 0
		.amdhsa_user_sgpr_kernarg_preload_offset 0
		.amdhsa_user_sgpr_private_segment_size 0
		.amdhsa_wavefront_size32 1
		.amdhsa_uses_dynamic_stack 0
		.amdhsa_enable_private_segment 0
		.amdhsa_system_sgpr_workgroup_id_x 1
		.amdhsa_system_sgpr_workgroup_id_y 0
		.amdhsa_system_sgpr_workgroup_id_z 0
		.amdhsa_system_sgpr_workgroup_info 0
		.amdhsa_system_vgpr_workitem_id 0
		.amdhsa_next_free_vgpr 13
		.amdhsa_next_free_sgpr 32
		.amdhsa_named_barrier_count 0
		.amdhsa_reserve_vcc 1
		.amdhsa_float_round_mode_32 0
		.amdhsa_float_round_mode_16_64 0
		.amdhsa_float_denorm_mode_32 3
		.amdhsa_float_denorm_mode_16_64 3
		.amdhsa_fp16_overflow 0
		.amdhsa_memory_ordered 1
		.amdhsa_forward_progress 1
		.amdhsa_inst_pref_size 6
		.amdhsa_round_robin_scheduling 0
		.amdhsa_exception_fp_ieee_invalid_op 0
		.amdhsa_exception_fp_denorm_src 0
		.amdhsa_exception_fp_ieee_div_zero 0
		.amdhsa_exception_fp_ieee_overflow 0
		.amdhsa_exception_fp_ieee_underflow 0
		.amdhsa_exception_fp_ieee_inexact 0
		.amdhsa_exception_int_div_zero 0
	.end_amdhsa_kernel
	.text
.Lfunc_end30:
	.size	batched_transpose_32x32_pack_2x2_ediv_2x2_half, .Lfunc_end30-batched_transpose_32x32_pack_2x2_ediv_2x2_half
                                        ; -- End function
	.set batched_transpose_32x32_pack_2x2_ediv_2x2_half.num_vgpr, 13
	.set batched_transpose_32x32_pack_2x2_ediv_2x2_half.num_agpr, 0
	.set batched_transpose_32x32_pack_2x2_ediv_2x2_half.numbered_sgpr, 32
	.set batched_transpose_32x32_pack_2x2_ediv_2x2_half.num_named_barrier, 0
	.set batched_transpose_32x32_pack_2x2_ediv_2x2_half.private_seg_size, 0
	.set batched_transpose_32x32_pack_2x2_ediv_2x2_half.uses_vcc, 1
	.set batched_transpose_32x32_pack_2x2_ediv_2x2_half.uses_flat_scratch, 0
	.set batched_transpose_32x32_pack_2x2_ediv_2x2_half.has_dyn_sized_stack, 0
	.set batched_transpose_32x32_pack_2x2_ediv_2x2_half.has_recursion, 0
	.set batched_transpose_32x32_pack_2x2_ediv_2x2_half.has_indirect_call, 0
	.section	.AMDGPU.csdata,"",@progbits
; Kernel info:
; codeLenInByte = 692
; TotalNumSgprs: 34
; NumVgprs: 13
; ScratchSize: 0
; MemoryBound: 0
; FloatMode: 240
; IeeeMode: 1
; LDSByteSize: 2176 bytes/workgroup (compile time only)
; SGPRBlocks: 0
; VGPRBlocks: 0
; NumSGPRsForWavesPerEU: 34
; NumVGPRsForWavesPerEU: 13
; NamedBarCnt: 0
; Occupancy: 16
; WaveLimiterHint : 0
; COMPUTE_PGM_RSRC2:SCRATCH_EN: 0
; COMPUTE_PGM_RSRC2:USER_SGPR: 2
; COMPUTE_PGM_RSRC2:TRAP_HANDLER: 0
; COMPUTE_PGM_RSRC2:TGID_X_EN: 1
; COMPUTE_PGM_RSRC2:TGID_Y_EN: 0
; COMPUTE_PGM_RSRC2:TGID_Z_EN: 0
; COMPUTE_PGM_RSRC2:TIDIG_COMP_CNT: 0
	.text
	.protected	batched_transpose_32x32_pack_2x2_ediv_1x2_half ; -- Begin function batched_transpose_32x32_pack_2x2_ediv_1x2_half
	.globl	batched_transpose_32x32_pack_2x2_ediv_1x2_half
	.p2align	8
	.type	batched_transpose_32x32_pack_2x2_ediv_1x2_half,@function
batched_transpose_32x32_pack_2x2_ediv_1x2_half: ; @batched_transpose_32x32_pack_2x2_ediv_1x2_half
; %bb.0:
	s_load_b256 s[4:11], s[0:1], 0x10
	s_bfe_u32 s2, ttmp6, 0x4000c
	s_and_b32 s3, ttmp6, 15
	s_add_co_i32 s2, s2, 1
	s_getreg_b32 s12, hwreg(HW_REG_IB_STS2, 6, 4)
	s_mul_i32 s2, ttmp9, s2
	s_delay_alu instid0(SALU_CYCLE_1)
	s_add_co_i32 s3, s3, s2
	s_cmp_eq_u32 s12, 0
	s_cselect_b32 s2, ttmp9, s3
	s_mov_b32 s3, 0
	s_wait_kmcnt 0x0
	s_cmp_ge_u32 s2, s7
	s_cbranch_scc1 .LBB31_11
; %bb.1:
	s_load_b128 s[12:15], s[0:1], 0x0
	v_dual_lshrrev_b32 v10, 4, v0 :: v_dual_bitop2_b32 v11, 15, v0 bitop3:0x40
	v_mov_b32_e32 v1, 0
	s_wait_xcnt 0x0
	s_add_co_i32 s0, s4, 31
	s_lshr_b32 s1, s4, 1
	v_dual_lshlrev_b32 v0, 2, v10 :: v_dual_lshlrev_b32 v12, 1, v10
	v_lshlrev_b32_e32 v2, 2, v11
	s_lshr_b32 s24, s0, 5
	s_add_co_i32 s0, s5, 31
	s_delay_alu instid0(VALU_DEP_2)
	v_mad_u32_u24 v13, 0x44, v11, v0
	v_mov_b32_e32 v0, v1
	v_mad_u32_u24 v14, 0x44, v10, v2
	s_lshl_b32 s22, s1, 4
	s_mov_b32 s23, s3
	s_and_not1_b32 s0, s0, 31
	v_mov_b64_e32 v[2:3], v[0:1]
	s_lshl_b64 s[22:23], s[22:23], 2
	s_mov_b32 s16, s10
	s_mov_b32 s17, s3
	;; [unrolled: 1-line block ×6, first 2 shown]
	s_wait_kmcnt 0x0
	s_add_nc_u64 s[22:23], s[12:13], s[22:23]
	s_sub_co_i32 s8, 0, s0
	s_lshl_b32 s10, s2, 5
	s_lshl_b32 s25, s6, 5
	s_branch .LBB31_3
.LBB31_2:                               ;   in Loop: Header=BB31_3 Depth=1
	s_wait_xcnt 0x0
	s_or_b32 exec_lo, exec_lo, s0
	s_add_co_i32 s2, s2, s6
	s_add_co_i32 s10, s10, s25
	s_cmp_lt_u32 s2, s7
	s_cbranch_scc0 .LBB31_11
.LBB31_3:                               ; =>This Inner Loop Header: Depth=1
	s_mul_u64 s[26:27], s[16:17], s[2:3]
	s_mov_b32 s29, s3
	s_add_co_i32 s0, s2, s27
	v_mov_b32_e32 v5, v1
	s_lshr_b32 s28, s0, s11
	s_delay_alu instid0(SALU_CYCLE_1) | instskip(SKIP_4) | instid1(SALU_CYCLE_1)
	s_mul_u64 s[26:27], s[28:29], s[18:19]
	s_barrier_signal -1
	s_add_co_i32 s0, s28, s27
	s_barrier_wait -1
	s_lshr_b32 s27, s0, s9
	s_mul_i32 s0, s27, s24
	s_delay_alu instid0(SALU_CYCLE_1) | instskip(SKIP_4) | instid1(VALU_DEP_2)
	s_sub_co_i32 s26, s28, s0
	s_mul_i32 s28, s8, s28
	v_lshl_or_b32 v0, s26, 5, v12
	v_add3_u32 v4, s28, s10, v11
	s_wait_dscnt 0x0
	v_mad_nc_u64_u32 v[6:7], s27, s4, v[0:1]
	v_cmp_gt_u32_e32 vcc_lo, s4, v0
	s_delay_alu instid0(VALU_DEP_3) | instskip(SKIP_2) | instid1(VALU_DEP_1)
	v_cmp_gt_u32_e64 s0, s5, v4
	s_and_b32 s29, vcc_lo, s0
	v_mad_nc_u64_u32 v[8:9], v6, s20, v[4:5]
	v_mad_u32 v9, v7, s20, v9
	s_delay_alu instid0(VALU_DEP_1) | instskip(NEXT) | instid1(VALU_DEP_1)
	v_lshl_add_u64 v[6:7], v[8:9], 1, s[14:15]
	v_lshl_add_u64 v[8:9], s[20:21], 1, v[6:7]
	s_and_saveexec_b32 s0, s29
	s_cbranch_execz .LBB31_5
; %bb.4:                                ;   in Loop: Header=BB31_3 Depth=1
	s_clause 0x1
	global_load_u16 v0, v[6:7], off
	global_load_u16 v5, v[8:9], off
	s_wait_loadcnt 0x1
	v_bfi_b32 v2, 0xffff, v0, v2
	s_wait_loadcnt 0x0
	v_bfi_b32 v3, 0xffff, v5, v3
.LBB31_5:                               ;   in Loop: Header=BB31_3 Depth=1
	s_wait_xcnt 0x0
	s_or_b32 exec_lo, exec_lo, s0
	v_add_nc_u32_e32 v0, 16, v4
	s_delay_alu instid0(VALU_DEP_1) | instskip(SKIP_1) | instid1(SALU_CYCLE_1)
	v_cmp_gt_u32_e64 s0, s5, v0
	s_and_b32 s29, vcc_lo, s0
	s_and_saveexec_b32 s0, s29
	s_cbranch_execz .LBB31_7
; %bb.6:                                ;   in Loop: Header=BB31_3 Depth=1
	s_clause 0x1
	global_load_u16 v0, v[6:7], off offset:32
	global_load_u16 v4, v[8:9], off offset:32
	s_wait_loadcnt 0x1
	v_perm_b32 v2, v0, v2, 0x5040100
	s_wait_loadcnt 0x0
	v_perm_b32 v3, v4, v3, 0x5040100
.LBB31_7:                               ;   in Loop: Header=BB31_3 Depth=1
	s_wait_xcnt 0x0
	s_or_b32 exec_lo, exec_lo, s0
	v_add3_u32 v0, s28, s10, v10
	s_delay_alu instid0(VALU_DEP_2)
	v_perm_b32 v4, v2, v3, 0x1000504
	v_lshl_or_b32 v8, s26, 4, v11
	v_mov_b32_e32 v9, v1
	v_perm_b32 v5, v2, v3, 0x3020706
	v_mad_nc_u64_u32 v[6:7], s27, s20, v[0:1]
	ds_store_b32 v13, v4
	ds_store_b32 v13, v5 offset:1088
	s_wait_dscnt 0x0
	s_barrier_signal -1
	s_barrier_wait -1
	v_cmp_gt_u32_e32 vcc_lo, s1, v8
	v_cmp_gt_u32_e64 s0, s5, v0
	v_mad_nc_u64_u32 v[4:5], v6, s1, v[8:9]
	ds_load_b32 v6, v14 offset:1088
	s_and_b32 s26, s0, vcc_lo
	v_mad_u32 v5, v7, s1, v5
	s_and_saveexec_b32 s0, s26
	s_cbranch_execz .LBB31_9
; %bb.8:                                ;   in Loop: Header=BB31_3 Depth=1
	ds_load_b32 v7, v14
	v_lshl_add_u64 v[8:9], v[4:5], 2, s[12:13]
	s_wait_dscnt 0x0
	global_store_b32 v[8:9], v7, off
.LBB31_9:                               ;   in Loop: Header=BB31_3 Depth=1
	s_wait_xcnt 0x0
	s_or_b32 exec_lo, exec_lo, s0
	v_add_nc_u32_e32 v0, 16, v0
	s_delay_alu instid0(VALU_DEP_1) | instskip(SKIP_1) | instid1(SALU_CYCLE_1)
	v_cmp_gt_u32_e64 s0, s5, v0
	s_and_b32 s26, s0, vcc_lo
	s_and_saveexec_b32 s0, s26
	s_cbranch_execz .LBB31_2
; %bb.10:                               ;   in Loop: Header=BB31_3 Depth=1
	v_lshl_add_u64 v[4:5], v[4:5], 2, s[22:23]
	s_wait_dscnt 0x0
	global_store_b32 v[4:5], v6, off
	s_branch .LBB31_2
.LBB31_11:
	s_endpgm
	.section	.rodata,"a",@progbits
	.p2align	6, 0x0
	.amdhsa_kernel batched_transpose_32x32_pack_2x2_ediv_1x2_half
		.amdhsa_group_segment_fixed_size 2176
		.amdhsa_private_segment_fixed_size 0
		.amdhsa_kernarg_size 48
		.amdhsa_user_sgpr_count 2
		.amdhsa_user_sgpr_dispatch_ptr 0
		.amdhsa_user_sgpr_queue_ptr 0
		.amdhsa_user_sgpr_kernarg_segment_ptr 1
		.amdhsa_user_sgpr_dispatch_id 0
		.amdhsa_user_sgpr_kernarg_preload_length 0
		.amdhsa_user_sgpr_kernarg_preload_offset 0
		.amdhsa_user_sgpr_private_segment_size 0
		.amdhsa_wavefront_size32 1
		.amdhsa_uses_dynamic_stack 0
		.amdhsa_enable_private_segment 0
		.amdhsa_system_sgpr_workgroup_id_x 1
		.amdhsa_system_sgpr_workgroup_id_y 0
		.amdhsa_system_sgpr_workgroup_id_z 0
		.amdhsa_system_sgpr_workgroup_info 0
		.amdhsa_system_vgpr_workitem_id 0
		.amdhsa_next_free_vgpr 15
		.amdhsa_next_free_sgpr 30
		.amdhsa_named_barrier_count 0
		.amdhsa_reserve_vcc 1
		.amdhsa_float_round_mode_32 0
		.amdhsa_float_round_mode_16_64 0
		.amdhsa_float_denorm_mode_32 3
		.amdhsa_float_denorm_mode_16_64 3
		.amdhsa_fp16_overflow 0
		.amdhsa_memory_ordered 1
		.amdhsa_forward_progress 1
		.amdhsa_inst_pref_size 7
		.amdhsa_round_robin_scheduling 0
		.amdhsa_exception_fp_ieee_invalid_op 0
		.amdhsa_exception_fp_denorm_src 0
		.amdhsa_exception_fp_ieee_div_zero 0
		.amdhsa_exception_fp_ieee_overflow 0
		.amdhsa_exception_fp_ieee_underflow 0
		.amdhsa_exception_fp_ieee_inexact 0
		.amdhsa_exception_int_div_zero 0
	.end_amdhsa_kernel
	.text
.Lfunc_end31:
	.size	batched_transpose_32x32_pack_2x2_ediv_1x2_half, .Lfunc_end31-batched_transpose_32x32_pack_2x2_ediv_1x2_half
                                        ; -- End function
	.set batched_transpose_32x32_pack_2x2_ediv_1x2_half.num_vgpr, 15
	.set batched_transpose_32x32_pack_2x2_ediv_1x2_half.num_agpr, 0
	.set batched_transpose_32x32_pack_2x2_ediv_1x2_half.numbered_sgpr, 30
	.set batched_transpose_32x32_pack_2x2_ediv_1x2_half.num_named_barrier, 0
	.set batched_transpose_32x32_pack_2x2_ediv_1x2_half.private_seg_size, 0
	.set batched_transpose_32x32_pack_2x2_ediv_1x2_half.uses_vcc, 1
	.set batched_transpose_32x32_pack_2x2_ediv_1x2_half.uses_flat_scratch, 0
	.set batched_transpose_32x32_pack_2x2_ediv_1x2_half.has_dyn_sized_stack, 0
	.set batched_transpose_32x32_pack_2x2_ediv_1x2_half.has_recursion, 0
	.set batched_transpose_32x32_pack_2x2_ediv_1x2_half.has_indirect_call, 0
	.section	.AMDGPU.csdata,"",@progbits
; Kernel info:
; codeLenInByte = 796
; TotalNumSgprs: 32
; NumVgprs: 15
; ScratchSize: 0
; MemoryBound: 0
; FloatMode: 240
; IeeeMode: 1
; LDSByteSize: 2176 bytes/workgroup (compile time only)
; SGPRBlocks: 0
; VGPRBlocks: 0
; NumSGPRsForWavesPerEU: 32
; NumVGPRsForWavesPerEU: 15
; NamedBarCnt: 0
; Occupancy: 16
; WaveLimiterHint : 0
; COMPUTE_PGM_RSRC2:SCRATCH_EN: 0
; COMPUTE_PGM_RSRC2:USER_SGPR: 2
; COMPUTE_PGM_RSRC2:TRAP_HANDLER: 0
; COMPUTE_PGM_RSRC2:TGID_X_EN: 1
; COMPUTE_PGM_RSRC2:TGID_Y_EN: 0
; COMPUTE_PGM_RSRC2:TGID_Z_EN: 0
; COMPUTE_PGM_RSRC2:TIDIG_COMP_CNT: 0
	.text
	.protected	batched_transpose_32x32_pack_2x2_ediv_2x1_half ; -- Begin function batched_transpose_32x32_pack_2x2_ediv_2x1_half
	.globl	batched_transpose_32x32_pack_2x2_ediv_2x1_half
	.p2align	8
	.type	batched_transpose_32x32_pack_2x2_ediv_2x1_half,@function
batched_transpose_32x32_pack_2x2_ediv_2x1_half: ; @batched_transpose_32x32_pack_2x2_ediv_2x1_half
; %bb.0:
	s_load_b256 s[4:11], s[0:1], 0x10
	s_bfe_u32 s2, ttmp6, 0x4000c
	s_and_b32 s3, ttmp6, 15
	s_add_co_i32 s2, s2, 1
	s_getreg_b32 s12, hwreg(HW_REG_IB_STS2, 6, 4)
	s_mul_i32 s2, ttmp9, s2
	s_delay_alu instid0(SALU_CYCLE_1)
	s_add_co_i32 s3, s3, s2
	s_cmp_eq_u32 s12, 0
	s_cselect_b32 s2, ttmp9, s3
	s_mov_b32 s3, 0
	s_wait_kmcnt 0x0
	s_cmp_ge_u32 s2, s7
	s_cbranch_scc1 .LBB32_11
; %bb.1:
	s_load_b128 s[12:15], s[0:1], 0x0
	v_dual_lshrrev_b32 v11, 4, v0 :: v_dual_bitop2_b32 v10, 15, v0 bitop3:0x40
	s_wait_xcnt 0x0
	s_add_co_i32 s0, s4, 31
	s_add_co_i32 s24, s5, 31
	s_lshr_b32 s1, s5, 1
	v_dual_mov_b32 v3, 0 :: v_dual_lshlrev_b32 v2, 2, v10
	v_dual_lshlrev_b32 v0, 2, v11 :: v_dual_lshlrev_b32 v1, 1, v11
	s_mov_b32 s18, s8
	s_lshr_b32 s8, s0, 5
	s_and_b32 s0, s24, 0xffffffe0
	s_delay_alu instid0(VALU_DEP_1)
	v_mad_u32_u24 v12, 0x44, v10, v0
	v_lshl_or_b32 v14, s2, 5, v1
	v_mov_b64_e32 v[0:1], 0
	s_mov_b32 s23, s3
	s_lshl_b32 s22, s1, 4
	s_sub_co_i32 s26, 0, s0
	s_lshr_b32 s0, s24, 1
	v_mad_u32_u24 v13, 0x44, v11, v2
	v_lshl_or_b32 v15, s2, 4, v10
	s_lshl_b64 s[22:23], s[22:23], 2
	s_and_b32 s0, s0, 0x7ffffff0
	s_mov_b32 s16, s10
	s_mov_b32 s17, s3
	;; [unrolled: 1-line block ×5, first 2 shown]
	s_wait_kmcnt 0x0
	s_add_nc_u64 s[22:23], s[14:15], s[22:23]
	s_mov_b32 s10, s5
	s_lshl_b32 s27, s6, 5
	s_sub_co_i32 s28, 0, s0
	s_lshl_b32 s29, s6, 4
	s_branch .LBB32_3
.LBB32_2:                               ;   in Loop: Header=BB32_3 Depth=1
	s_wait_xcnt 0x0
	s_or_b32 exec_lo, exec_lo, s0
	v_dual_add_nc_u32 v14, s27, v14 :: v_dual_add_nc_u32 v15, s29, v15
	s_add_co_i32 s2, s2, s6
	s_delay_alu instid0(SALU_CYCLE_1)
	s_cmp_lt_u32 s2, s7
	s_cbranch_scc0 .LBB32_11
.LBB32_3:                               ; =>This Inner Loop Header: Depth=1
	s_mul_u64 s[24:25], s[16:17], s[2:3]
	s_delay_alu instid0(SALU_CYCLE_1)
	s_add_co_i32 s0, s2, s25
	s_mov_b32 s25, s3
	s_lshr_b32 s24, s0, s11
	s_barrier_signal -1
	s_mul_u64 s[30:31], s[24:25], s[18:19]
	v_mad_u32 v6, s28, s24, v15
	s_add_co_i32 s0, s24, s31
	s_barrier_wait -1
	s_lshr_b32 s25, s0, s9
	s_delay_alu instid0(SALU_CYCLE_1) | instskip(SKIP_2) | instid1(SALU_CYCLE_1)
	s_mul_i32 s0, s25, s8
	v_mov_b32_e32 v7, v3
	s_sub_co_i32 s0, s24, s0
	s_lshl_b32 s30, s0, 5
	s_delay_alu instid0(SALU_CYCLE_1) | instskip(NEXT) | instid1(VALU_DEP_3)
	v_or_b32_e32 v2, s30, v11
	v_cmp_gt_u32_e32 vcc_lo, s1, v6
	s_delay_alu instid0(VALU_DEP_2) | instskip(SKIP_4) | instid1(VALU_DEP_1)
	v_mad_nc_u64_u32 v[8:9], s25, s20, v[2:3]
	v_cmp_gt_u32_e64 s0, s4, v2
	s_and_b32 s31, s0, vcc_lo
	s_wait_dscnt 0x1
	v_mad_nc_u64_u32 v[4:5], v8, s1, v[6:7]
	v_mad_u32 v5, v9, s1, v5
	s_and_saveexec_b32 s0, s31
	s_cbranch_execz .LBB32_5
; %bb.4:                                ;   in Loop: Header=BB32_3 Depth=1
	s_delay_alu instid0(VALU_DEP_1)
	v_lshl_add_u64 v[6:7], v[4:5], 2, s[14:15]
	global_load_b32 v0, v[6:7], off
.LBB32_5:                               ;   in Loop: Header=BB32_3 Depth=1
	s_wait_xcnt 0x0
	s_or_b32 exec_lo, exec_lo, s0
	v_add_nc_u32_e32 v2, 16, v2
	s_delay_alu instid0(VALU_DEP_1) | instskip(SKIP_1) | instid1(SALU_CYCLE_1)
	v_cmp_gt_u32_e64 s0, s4, v2
	s_and_b32 s31, s0, vcc_lo
	s_and_saveexec_b32 s0, s31
	s_cbranch_execz .LBB32_7
; %bb.6:                                ;   in Loop: Header=BB32_3 Depth=1
	v_lshl_add_u64 v[4:5], v[4:5], 2, s[22:23]
	global_load_b32 v1, v[4:5], off
.LBB32_7:                               ;   in Loop: Header=BB32_3 Depth=1
	s_wait_xcnt 0x0
	s_or_b32 exec_lo, exec_lo, s0
	v_mad_u32 v2, s26, s24, v14
	s_wait_loadcnt 0x0
	v_and_b32_e32 v8, 0xffff, v0
	v_dual_mov_b32 v5, v3 :: v_dual_bitop2_b32 v4, s30, v10 bitop3:0x54
	s_wait_dscnt 0x0
	v_lshrrev_b32_e32 v16, 16, v0
	s_delay_alu instid0(VALU_DEP_3) | instskip(NEXT) | instid1(VALU_DEP_3)
	v_lshl_or_b32 v17, v1, 16, v8
	v_cmp_gt_u32_e64 s0, s4, v4
	v_mad_nc_u64_u32 v[6:7], s25, s10, v[2:3]
	v_cmp_gt_u32_e32 vcc_lo, s5, v2
	s_and_b32 s24, s0, vcc_lo
	s_delay_alu instid0(VALU_DEP_2)
	v_mad_nc_u64_u32 v[8:9], v6, s20, v[4:5]
	v_and_or_b32 v5, 0xffff0000, v1, v16
	ds_store_b32 v12, v17
	ds_store_b32 v12, v5 offset:1088
	s_wait_dscnt 0x0
	s_barrier_signal -1
	s_barrier_wait -1
	ds_load_b32 v5, v13
	ds_load_b32 v16, v13 offset:1088
	v_mad_u32 v9, v7, s20, v9
	s_delay_alu instid0(VALU_DEP_1) | instskip(NEXT) | instid1(VALU_DEP_1)
	v_lshl_add_u64 v[6:7], v[8:9], 1, s[12:13]
	v_lshl_add_u64 v[8:9], s[20:21], 1, v[6:7]
	s_and_saveexec_b32 s0, s24
	s_cbranch_execz .LBB32_9
; %bb.8:                                ;   in Loop: Header=BB32_3 Depth=1
	s_wait_dscnt 0x1
	global_store_b16 v[6:7], v5, off
	s_wait_dscnt 0x0
	global_store_b16 v[8:9], v16, off
.LBB32_9:                               ;   in Loop: Header=BB32_3 Depth=1
	s_wait_xcnt 0x0
	s_or_b32 exec_lo, exec_lo, s0
	v_or_b32_e32 v2, 16, v4
	s_delay_alu instid0(VALU_DEP_1) | instskip(SKIP_1) | instid1(SALU_CYCLE_1)
	v_cmp_gt_u32_e64 s0, s4, v2
	s_and_b32 s24, s0, vcc_lo
	s_and_saveexec_b32 s0, s24
	s_cbranch_execz .LBB32_2
; %bb.10:                               ;   in Loop: Header=BB32_3 Depth=1
	s_wait_dscnt 0x1
	global_store_d16_hi_b16 v[6:7], v5, off offset:32
	s_wait_dscnt 0x0
	global_store_d16_hi_b16 v[8:9], v16, off offset:32
	s_branch .LBB32_2
.LBB32_11:
	s_endpgm
	.section	.rodata,"a",@progbits
	.p2align	6, 0x0
	.amdhsa_kernel batched_transpose_32x32_pack_2x2_ediv_2x1_half
		.amdhsa_group_segment_fixed_size 2176
		.amdhsa_private_segment_fixed_size 0
		.amdhsa_kernarg_size 48
		.amdhsa_user_sgpr_count 2
		.amdhsa_user_sgpr_dispatch_ptr 0
		.amdhsa_user_sgpr_queue_ptr 0
		.amdhsa_user_sgpr_kernarg_segment_ptr 1
		.amdhsa_user_sgpr_dispatch_id 0
		.amdhsa_user_sgpr_kernarg_preload_length 0
		.amdhsa_user_sgpr_kernarg_preload_offset 0
		.amdhsa_user_sgpr_private_segment_size 0
		.amdhsa_wavefront_size32 1
		.amdhsa_uses_dynamic_stack 0
		.amdhsa_enable_private_segment 0
		.amdhsa_system_sgpr_workgroup_id_x 1
		.amdhsa_system_sgpr_workgroup_id_y 0
		.amdhsa_system_sgpr_workgroup_id_z 0
		.amdhsa_system_sgpr_workgroup_info 0
		.amdhsa_system_vgpr_workitem_id 0
		.amdhsa_next_free_vgpr 18
		.amdhsa_next_free_sgpr 32
		.amdhsa_named_barrier_count 0
		.amdhsa_reserve_vcc 1
		.amdhsa_float_round_mode_32 0
		.amdhsa_float_round_mode_16_64 0
		.amdhsa_float_denorm_mode_32 3
		.amdhsa_float_denorm_mode_16_64 3
		.amdhsa_fp16_overflow 0
		.amdhsa_memory_ordered 1
		.amdhsa_forward_progress 1
		.amdhsa_inst_pref_size 7
		.amdhsa_round_robin_scheduling 0
		.amdhsa_exception_fp_ieee_invalid_op 0
		.amdhsa_exception_fp_denorm_src 0
		.amdhsa_exception_fp_ieee_div_zero 0
		.amdhsa_exception_fp_ieee_overflow 0
		.amdhsa_exception_fp_ieee_underflow 0
		.amdhsa_exception_fp_ieee_inexact 0
		.amdhsa_exception_int_div_zero 0
	.end_amdhsa_kernel
	.text
.Lfunc_end32:
	.size	batched_transpose_32x32_pack_2x2_ediv_2x1_half, .Lfunc_end32-batched_transpose_32x32_pack_2x2_ediv_2x1_half
                                        ; -- End function
	.set batched_transpose_32x32_pack_2x2_ediv_2x1_half.num_vgpr, 18
	.set batched_transpose_32x32_pack_2x2_ediv_2x1_half.num_agpr, 0
	.set batched_transpose_32x32_pack_2x2_ediv_2x1_half.numbered_sgpr, 32
	.set batched_transpose_32x32_pack_2x2_ediv_2x1_half.num_named_barrier, 0
	.set batched_transpose_32x32_pack_2x2_ediv_2x1_half.private_seg_size, 0
	.set batched_transpose_32x32_pack_2x2_ediv_2x1_half.uses_vcc, 1
	.set batched_transpose_32x32_pack_2x2_ediv_2x1_half.uses_flat_scratch, 0
	.set batched_transpose_32x32_pack_2x2_ediv_2x1_half.has_dyn_sized_stack, 0
	.set batched_transpose_32x32_pack_2x2_ediv_2x1_half.has_recursion, 0
	.set batched_transpose_32x32_pack_2x2_ediv_2x1_half.has_indirect_call, 0
	.section	.AMDGPU.csdata,"",@progbits
; Kernel info:
; codeLenInByte = 804
; TotalNumSgprs: 34
; NumVgprs: 18
; ScratchSize: 0
; MemoryBound: 0
; FloatMode: 240
; IeeeMode: 1
; LDSByteSize: 2176 bytes/workgroup (compile time only)
; SGPRBlocks: 0
; VGPRBlocks: 1
; NumSGPRsForWavesPerEU: 34
; NumVGPRsForWavesPerEU: 18
; NamedBarCnt: 0
; Occupancy: 16
; WaveLimiterHint : 0
; COMPUTE_PGM_RSRC2:SCRATCH_EN: 0
; COMPUTE_PGM_RSRC2:USER_SGPR: 2
; COMPUTE_PGM_RSRC2:TRAP_HANDLER: 0
; COMPUTE_PGM_RSRC2:TGID_X_EN: 1
; COMPUTE_PGM_RSRC2:TGID_Y_EN: 0
; COMPUTE_PGM_RSRC2:TGID_Z_EN: 0
; COMPUTE_PGM_RSRC2:TIDIG_COMP_CNT: 0
	.text
	.protected	batched_transpose_32x32_pack_2x2_ediv_1x1_half ; -- Begin function batched_transpose_32x32_pack_2x2_ediv_1x1_half
	.globl	batched_transpose_32x32_pack_2x2_ediv_1x1_half
	.p2align	8
	.type	batched_transpose_32x32_pack_2x2_ediv_1x1_half,@function
batched_transpose_32x32_pack_2x2_ediv_1x1_half: ; @batched_transpose_32x32_pack_2x2_ediv_1x1_half
; %bb.0:
	s_load_b256 s[4:11], s[0:1], 0x10
	s_bfe_u32 s2, ttmp6, 0x4000c
	s_and_b32 s3, ttmp6, 15
	s_add_co_i32 s2, s2, 1
	s_getreg_b32 s12, hwreg(HW_REG_IB_STS2, 6, 4)
	s_mul_i32 s2, ttmp9, s2
	s_delay_alu instid0(SALU_CYCLE_1)
	s_add_co_i32 s3, s3, s2
	s_cmp_eq_u32 s12, 0
	s_cselect_b32 s2, ttmp9, s3
	s_mov_b32 s3, 0
	s_wait_kmcnt 0x0
	s_cmp_ge_u32 s2, s7
	s_cbranch_scc1 .LBB33_19
; %bb.1:
	s_load_b128 s[12:15], s[0:1], 0x0
	v_dual_lshrrev_b32 v11, 4, v0 :: v_dual_bitop2_b32 v10, 15, v0 bitop3:0x40
	s_wait_xcnt 0x0
	s_lshl_b32 s0, s5, 4
	s_mov_b32 s1, s3
	s_delay_alu instid0(VALU_DEP_1)
	v_dual_mov_b32 v1, 0 :: v_dual_lshlrev_b32 v2, 2, v10
	v_lshlrev_b32_e32 v0, 2, v11
	s_add_co_i32 s20, s4, 31
	s_add_co_i32 s24, s5, 31
	s_lshl_b32 s22, s4, 4
	s_mov_b32 s23, s3
	v_mad_u32_u24 v12, 0x44, v10, v0
	v_mov_b32_e32 v0, v1
	v_mad_u32_u24 v13, 0x44, v11, v2
	s_lshl_b64 s[0:1], s[0:1], 1
	s_mov_b32 s16, s10
	s_lshr_b32 s10, s20, 5
	v_mov_b64_e32 v[2:3], v[0:1]
	s_and_not1_b32 s24, s24, 31
	s_wait_kmcnt 0x0
	s_add_nc_u64 s[20:21], s[14:15], s[0:1]
	s_lshl_b64 s[0:1], s[22:23], 1
	s_mov_b32 s17, s3
	s_mov_b32 s18, s8
	;; [unrolled: 1-line block ×4, first 2 shown]
	s_add_nc_u64 s[22:23], s[12:13], s[0:1]
	s_sub_co_i32 s24, 0, s24
	s_lshl_b32 s25, s2, 5
	s_lshl_b32 s26, s6, 5
	s_branch .LBB33_3
.LBB33_2:                               ;   in Loop: Header=BB33_3 Depth=1
	s_wait_xcnt 0x0
	s_or_b32 exec_lo, exec_lo, s0
	s_add_co_i32 s2, s2, s6
	s_add_co_i32 s25, s25, s26
	s_cmp_lt_u32 s2, s7
	s_cbranch_scc0 .LBB33_19
.LBB33_3:                               ; =>This Inner Loop Header: Depth=1
	s_mul_u64 s[0:1], s[16:17], s[2:3]
	s_delay_alu instid0(SALU_CYCLE_1)
	s_add_co_i32 s0, s2, s1
	s_mov_b32 s1, s3
	s_lshr_b32 s0, s0, s11
	s_barrier_signal -1
	s_mul_u64 s[28:29], s[0:1], s[18:19]
	s_barrier_wait -1
	s_add_co_i32 s1, s0, s29
	s_mul_i32 s29, s24, s0
	s_lshr_b32 s27, s1, s9
	v_add3_u32 v6, s29, s25, v10
	s_mul_i32 s1, s27, s10
	s_delay_alu instid0(SALU_CYCLE_1)
	s_sub_co_i32 s1, s0, s1
	s_wait_dscnt 0x0
	v_mov_b32_e32 v7, v1
	s_lshl_b32 s28, s1, 5
	v_cmp_gt_u32_e32 vcc_lo, s5, v6
	v_or_b32_e32 v0, s28, v11
	s_delay_alu instid0(VALU_DEP_1) | instskip(SKIP_3) | instid1(VALU_DEP_1)
	v_mad_nc_u64_u32 v[8:9], s27, s4, v[0:1]
	v_cmp_gt_u32_e64 s1, s4, v0
	s_and_b32 s30, s1, vcc_lo
	v_mad_nc_u64_u32 v[4:5], v8, s8, v[6:7]
	v_mad_u32 v5, v9, s8, v5
	s_delay_alu instid0(VALU_DEP_1)
	v_lshl_add_u64 v[8:9], v[4:5], 1, s[14:15]
	s_and_saveexec_b32 s0, s30
	s_cbranch_execz .LBB33_5
; %bb.4:                                ;   in Loop: Header=BB33_3 Depth=1
	global_load_u16 v7, v[8:9], off
	s_wait_loadcnt 0x0
	v_bfi_b32 v2, 0xffff, v7, v2
.LBB33_5:                               ;   in Loop: Header=BB33_3 Depth=1
	s_wait_xcnt 0x0
	s_or_b32 exec_lo, exec_lo, s0
	v_add_nc_u32_e32 v6, 16, v6
	s_delay_alu instid0(VALU_DEP_1) | instskip(SKIP_1) | instid1(SALU_CYCLE_1)
	v_cmp_gt_u32_e64 s0, s5, v6
	s_and_b32 s30, s1, s0
	s_and_saveexec_b32 s1, s30
	s_cbranch_execz .LBB33_7
; %bb.6:                                ;   in Loop: Header=BB33_3 Depth=1
	global_load_u16 v6, v[8:9], off offset:32
	s_wait_loadcnt 0x0
	v_perm_b32 v2, v6, v2, 0x5040100
.LBB33_7:                               ;   in Loop: Header=BB33_3 Depth=1
	s_wait_xcnt 0x0
	s_or_b32 exec_lo, exec_lo, s1
	v_add_nc_u32_e32 v0, 16, v0
	v_lshl_add_u64 v[4:5], v[4:5], 1, s[20:21]
	s_delay_alu instid0(VALU_DEP_2) | instskip(SKIP_1) | instid1(SALU_CYCLE_1)
	v_cmp_gt_u32_e64 s1, s4, v0
	s_and_b32 s31, s1, vcc_lo
	s_and_saveexec_b32 s30, s31
	s_cbranch_execz .LBB33_9
; %bb.8:                                ;   in Loop: Header=BB33_3 Depth=1
	global_load_u16 v0, v[4:5], off
	s_wait_loadcnt 0x0
	v_bfi_b32 v3, 0xffff, v0, v3
.LBB33_9:                               ;   in Loop: Header=BB33_3 Depth=1
	s_wait_xcnt 0x0
	s_or_b32 exec_lo, exec_lo, s30
	s_and_b32 s1, s1, s0
	s_delay_alu instid0(SALU_CYCLE_1)
	s_and_saveexec_b32 s0, s1
	s_cbranch_execz .LBB33_11
; %bb.10:                               ;   in Loop: Header=BB33_3 Depth=1
	global_load_u16 v0, v[4:5], off offset:32
	s_wait_loadcnt 0x0
	v_perm_b32 v3, v0, v3, 0x5040100
.LBB33_11:                              ;   in Loop: Header=BB33_3 Depth=1
	s_wait_xcnt 0x0
	s_or_b32 exec_lo, exec_lo, s0
	v_add3_u32 v0, s29, s25, v11
	v_dual_mov_b32 v7, v1 :: v_dual_bitop2_b32 v6, s28, v10 bitop3:0x54
	v_perm_b32 v14, v2, v3, 0x1000504
	v_perm_b32 v15, v2, v3, 0x3020706
	s_delay_alu instid0(VALU_DEP_4)
	v_mad_nc_u64_u32 v[8:9], s27, s8, v[0:1]
	ds_store_b32 v12, v14
	ds_store_b32 v12, v15 offset:1088
	s_wait_dscnt 0x0
	s_barrier_signal -1
	s_barrier_wait -1
	v_cmp_gt_u32_e32 vcc_lo, s4, v6
	v_cmp_gt_u32_e64 s1, s5, v0
	v_mad_nc_u64_u32 v[4:5], v8, s4, v[6:7]
	ds_load_b32 v14, v13
	ds_load_b32 v7, v13 offset:1088
	s_and_b32 s27, s1, vcc_lo
	v_mad_u32 v5, v9, s4, v5
	s_delay_alu instid0(VALU_DEP_1)
	v_lshl_add_u64 v[8:9], v[4:5], 1, s[12:13]
	s_and_saveexec_b32 s0, s27
	s_cbranch_execz .LBB33_13
; %bb.12:                               ;   in Loop: Header=BB33_3 Depth=1
	s_wait_dscnt 0x1
	global_store_b16 v[8:9], v14, off
.LBB33_13:                              ;   in Loop: Header=BB33_3 Depth=1
	s_wait_xcnt 0x0
	s_or_b32 exec_lo, exec_lo, s0
	v_or_b32_e32 v6, 16, v6
	s_delay_alu instid0(VALU_DEP_1) | instskip(SKIP_1) | instid1(SALU_CYCLE_1)
	v_cmp_gt_u32_e64 s0, s4, v6
	s_and_b32 s27, s1, s0
	s_and_saveexec_b32 s1, s27
	s_cbranch_execz .LBB33_15
; %bb.14:                               ;   in Loop: Header=BB33_3 Depth=1
	s_wait_dscnt 0x1
	global_store_d16_hi_b16 v[8:9], v14, off offset:32
.LBB33_15:                              ;   in Loop: Header=BB33_3 Depth=1
	s_wait_xcnt 0x0
	s_or_b32 exec_lo, exec_lo, s1
	v_add_nc_u32_e32 v0, 16, v0
	v_lshl_add_u64 v[4:5], v[4:5], 1, s[22:23]
	s_delay_alu instid0(VALU_DEP_2) | instskip(SKIP_1) | instid1(SALU_CYCLE_1)
	v_cmp_gt_u32_e64 s1, s5, v0
	s_and_b32 s28, s1, vcc_lo
	s_and_saveexec_b32 s27, s28
	s_cbranch_execz .LBB33_17
; %bb.16:                               ;   in Loop: Header=BB33_3 Depth=1
	s_wait_dscnt 0x0
	global_store_b16 v[4:5], v7, off
.LBB33_17:                              ;   in Loop: Header=BB33_3 Depth=1
	s_wait_xcnt 0x0
	s_or_b32 exec_lo, exec_lo, s27
	s_and_b32 s1, s1, s0
	s_delay_alu instid0(SALU_CYCLE_1)
	s_and_saveexec_b32 s0, s1
	s_cbranch_execz .LBB33_2
; %bb.18:                               ;   in Loop: Header=BB33_3 Depth=1
	s_wait_dscnt 0x0
	global_store_d16_hi_b16 v[4:5], v7, off offset:32
	s_branch .LBB33_2
.LBB33_19:
	s_endpgm
	.section	.rodata,"a",@progbits
	.p2align	6, 0x0
	.amdhsa_kernel batched_transpose_32x32_pack_2x2_ediv_1x1_half
		.amdhsa_group_segment_fixed_size 2176
		.amdhsa_private_segment_fixed_size 0
		.amdhsa_kernarg_size 48
		.amdhsa_user_sgpr_count 2
		.amdhsa_user_sgpr_dispatch_ptr 0
		.amdhsa_user_sgpr_queue_ptr 0
		.amdhsa_user_sgpr_kernarg_segment_ptr 1
		.amdhsa_user_sgpr_dispatch_id 0
		.amdhsa_user_sgpr_kernarg_preload_length 0
		.amdhsa_user_sgpr_kernarg_preload_offset 0
		.amdhsa_user_sgpr_private_segment_size 0
		.amdhsa_wavefront_size32 1
		.amdhsa_uses_dynamic_stack 0
		.amdhsa_enable_private_segment 0
		.amdhsa_system_sgpr_workgroup_id_x 1
		.amdhsa_system_sgpr_workgroup_id_y 0
		.amdhsa_system_sgpr_workgroup_id_z 0
		.amdhsa_system_sgpr_workgroup_info 0
		.amdhsa_system_vgpr_workitem_id 0
		.amdhsa_next_free_vgpr 16
		.amdhsa_next_free_sgpr 32
		.amdhsa_named_barrier_count 0
		.amdhsa_reserve_vcc 1
		.amdhsa_float_round_mode_32 0
		.amdhsa_float_round_mode_16_64 0
		.amdhsa_float_denorm_mode_32 3
		.amdhsa_float_denorm_mode_16_64 3
		.amdhsa_fp16_overflow 0
		.amdhsa_memory_ordered 1
		.amdhsa_forward_progress 1
		.amdhsa_inst_pref_size 8
		.amdhsa_round_robin_scheduling 0
		.amdhsa_exception_fp_ieee_invalid_op 0
		.amdhsa_exception_fp_denorm_src 0
		.amdhsa_exception_fp_ieee_div_zero 0
		.amdhsa_exception_fp_ieee_overflow 0
		.amdhsa_exception_fp_ieee_underflow 0
		.amdhsa_exception_fp_ieee_inexact 0
		.amdhsa_exception_int_div_zero 0
	.end_amdhsa_kernel
	.text
.Lfunc_end33:
	.size	batched_transpose_32x32_pack_2x2_ediv_1x1_half, .Lfunc_end33-batched_transpose_32x32_pack_2x2_ediv_1x1_half
                                        ; -- End function
	.set batched_transpose_32x32_pack_2x2_ediv_1x1_half.num_vgpr, 16
	.set batched_transpose_32x32_pack_2x2_ediv_1x1_half.num_agpr, 0
	.set batched_transpose_32x32_pack_2x2_ediv_1x1_half.numbered_sgpr, 32
	.set batched_transpose_32x32_pack_2x2_ediv_1x1_half.num_named_barrier, 0
	.set batched_transpose_32x32_pack_2x2_ediv_1x1_half.private_seg_size, 0
	.set batched_transpose_32x32_pack_2x2_ediv_1x1_half.uses_vcc, 1
	.set batched_transpose_32x32_pack_2x2_ediv_1x1_half.uses_flat_scratch, 0
	.set batched_transpose_32x32_pack_2x2_ediv_1x1_half.has_dyn_sized_stack, 0
	.set batched_transpose_32x32_pack_2x2_ediv_1x1_half.has_recursion, 0
	.set batched_transpose_32x32_pack_2x2_ediv_1x1_half.has_indirect_call, 0
	.section	.AMDGPU.csdata,"",@progbits
; Kernel info:
; codeLenInByte = 944
; TotalNumSgprs: 34
; NumVgprs: 16
; ScratchSize: 0
; MemoryBound: 0
; FloatMode: 240
; IeeeMode: 1
; LDSByteSize: 2176 bytes/workgroup (compile time only)
; SGPRBlocks: 0
; VGPRBlocks: 0
; NumSGPRsForWavesPerEU: 34
; NumVGPRsForWavesPerEU: 16
; NamedBarCnt: 0
; Occupancy: 16
; WaveLimiterHint : 0
; COMPUTE_PGM_RSRC2:SCRATCH_EN: 0
; COMPUTE_PGM_RSRC2:USER_SGPR: 2
; COMPUTE_PGM_RSRC2:TRAP_HANDLER: 0
; COMPUTE_PGM_RSRC2:TGID_X_EN: 1
; COMPUTE_PGM_RSRC2:TGID_Y_EN: 0
; COMPUTE_PGM_RSRC2:TGID_Z_EN: 0
; COMPUTE_PGM_RSRC2:TIDIG_COMP_CNT: 0
	.text
	.protected	batched_transpose_64x32_pack_4x2_ediv_4x2_half ; -- Begin function batched_transpose_64x32_pack_4x2_ediv_4x2_half
	.globl	batched_transpose_64x32_pack_4x2_ediv_4x2_half
	.p2align	8
	.type	batched_transpose_64x32_pack_4x2_ediv_4x2_half,@function
batched_transpose_64x32_pack_4x2_ediv_4x2_half: ; @batched_transpose_64x32_pack_4x2_ediv_4x2_half
; %bb.0:
	s_load_b256 s[4:11], s[0:1], 0x10
	s_bfe_u32 s2, ttmp6, 0x4000c
	s_and_b32 s3, ttmp6, 15
	s_add_co_i32 s2, s2, 1
	s_getreg_b32 s12, hwreg(HW_REG_IB_STS2, 6, 4)
	s_mul_i32 s2, ttmp9, s2
	s_delay_alu instid0(SALU_CYCLE_1)
	s_add_co_i32 s3, s3, s2
	s_cmp_eq_u32 s12, 0
	s_cselect_b32 s2, ttmp9, s3
	s_mov_b32 s3, 0
	s_wait_kmcnt 0x0
	s_cmp_ge_u32 s2, s7
	s_cbranch_scc1 .LBB34_7
; %bb.1:
	s_load_b128 s[12:15], s[0:1], 0x0
	v_dual_lshrrev_b32 v1, 4, v0 :: v_dual_bitop2_b32 v4, 15, v0 bitop3:0x40
	s_wait_xcnt 0x0
	s_add_co_i32 s0, s4, 31
	s_mov_b32 s20, s10
	s_lshr_b32 s1, s0, 5
	v_dual_lshlrev_b32 v0, 2, v1 :: v_dual_lshlrev_b32 v2, 2, v4
	s_add_co_i32 s0, s5, 63
	v_lshlrev_b32_e32 v5, 1, v1
	s_and_b32 s10, s0, 0xffffffc0
	s_lshr_b32 s0, s0, 2
	v_mad_u32_u24 v6, 0x44, v4, v0
	v_mad_u32_u24 v7, 0x44, v1, v2
	v_lshl_or_b32 v8, s2, 6, v0
	v_lshl_or_b32 v9, s2, 4, v4
	v_mov_b32_e32 v1, 0
	s_lshr_b32 s16, s4, 1
	s_and_b32 s0, s0, 0x3ffffff0
	s_lshr_b32 s18, s5, 2
	s_mov_b32 s21, s3
	s_mov_b32 s22, s8
	;; [unrolled: 1-line block ×6, first 2 shown]
	s_and_b32 s24, s4, -2
	s_mov_b32 s25, s3
	s_mul_i32 s26, s16, 3
	s_mov_b32 s27, s3
	s_sub_co_i32 s10, 0, s10
	s_lshl_b32 s30, s6, 6
	s_sub_co_i32 s31, 0, s0
	s_lshl_b32 s33, s6, 4
	s_branch .LBB34_3
.LBB34_2:                               ;   in Loop: Header=BB34_3 Depth=1
	s_wait_xcnt 0x0
	s_or_b32 exec_lo, exec_lo, s0
	v_dual_add_nc_u32 v8, s30, v8 :: v_dual_add_nc_u32 v9, s33, v9
	s_add_co_i32 s2, s2, s6
	s_delay_alu instid0(SALU_CYCLE_1)
	s_cmp_lt_u32 s2, s7
	s_cbranch_scc0 .LBB34_7
.LBB34_3:                               ; =>This Inner Loop Header: Depth=1
	s_mul_u64 s[28:29], s[20:21], s[2:3]
	s_delay_alu instid0(SALU_CYCLE_1)
	s_add_co_i32 s0, s2, s29
	s_mov_b32 s29, s3
	s_lshr_b32 s28, s0, s11
	s_barrier_signal -1
	s_mul_u64 s[34:35], s[28:29], s[22:23]
	s_barrier_wait -1
	s_add_co_i32 s0, s28, s35
	s_delay_alu instid0(SALU_CYCLE_1) | instskip(NEXT) | instid1(SALU_CYCLE_1)
	s_lshr_b32 s29, s0, s9
	s_mul_i32 s0, s29, s1
	s_delay_alu instid0(SALU_CYCLE_1) | instskip(SKIP_3) | instid1(VALU_DEP_2)
	s_sub_co_i32 s34, s28, s0
	s_mul_i32 s0, s31, s28
	v_lshl_or_b32 v0, s34, 5, v5
	v_add_nc_u32_e32 v2, s0, v9
	v_cmp_gt_u32_e32 vcc_lo, s4, v0
	s_delay_alu instid0(VALU_DEP_2) | instskip(SKIP_1) | instid1(SALU_CYCLE_1)
	v_cmp_gt_u32_e64 s0, s18, v2
	s_and_b32 s35, vcc_lo, s0
	s_and_saveexec_b32 s0, s35
	s_cbranch_execz .LBB34_5
; %bb.4:                                ;   in Loop: Header=BB34_3 Depth=1
	v_mad_nc_u64_u32 v[10:11], s29, s4, v[0:1]
	v_mov_b32_e32 v3, v1
	s_delay_alu instid0(VALU_DEP_2) | instskip(SKIP_1) | instid1(VALU_DEP_1)
	v_mul_u64_e32 v[10:11], s[18:19], v[10:11]
	s_wait_kmcnt 0x0
	v_lshl_add_u64 v[10:11], v[10:11], 3, s[14:15]
	s_delay_alu instid0(VALU_DEP_1) | instskip(NEXT) | instid1(VALU_DEP_1)
	v_lshl_add_u64 v[2:3], v[2:3], 3, v[10:11]
	v_lshl_add_u64 v[10:11], s[18:19], 3, v[2:3]
	s_clause 0x1
	global_load_b64 v[12:13], v[2:3], off
	global_load_b64 v[14:15], v[10:11], off
	s_wait_loadcnt 0x1
	v_and_b32_e32 v0, 0xffff, v12
	s_wait_xcnt 0x1
	v_lshrrev_b32_e32 v2, 16, v12
	v_and_b32_e32 v3, 0xffff, v13
	s_wait_loadcnt 0x0
	s_wait_xcnt 0x0
	v_perm_b32 v10, v13, v15, 0x3020706
	v_lshl_or_b32 v0, v14, 16, v0
	v_and_or_b32 v2, 0xffff0000, v14, v2
	v_lshl_or_b32 v3, v15, 16, v3
	ds_store_b32 v6, v0
	ds_store_b32 v6, v2 offset:1088
	ds_store_b32 v6, v3 offset:2176
	;; [unrolled: 1-line block ×3, first 2 shown]
.LBB34_5:                               ;   in Loop: Header=BB34_3 Depth=1
	s_or_b32 exec_lo, exec_lo, s0
	v_mad_u32 v0, s10, s28, v8
	v_lshl_or_b32 v2, s34, 4, v4
	s_wait_dscnt 0x0
	s_barrier_signal -1
	s_barrier_wait -1
	s_delay_alu instid0(VALU_DEP_1) | instskip(NEXT) | instid1(VALU_DEP_3)
	v_cmp_gt_u32_e32 vcc_lo, s16, v2
	v_cmp_gt_u32_e64 s0, s5, v0
	s_and_b32 s28, vcc_lo, s0
	s_delay_alu instid0(SALU_CYCLE_1)
	s_and_saveexec_b32 s0, s28
	s_cbranch_execz .LBB34_2
; %bb.6:                                ;   in Loop: Header=BB34_3 Depth=1
	v_mad_nc_u64_u32 v[10:11], s29, s8, v[0:1]
	ds_load_b32 v0, v7
	ds_load_b32 v16, v7 offset:1088
	ds_load_b32 v17, v7 offset:2176
	;; [unrolled: 1-line block ×3, first 2 shown]
	v_mov_b32_e32 v3, v1
	v_mul_u64_e32 v[10:11], s[16:17], v[10:11]
	s_wait_kmcnt 0x0
	s_delay_alu instid0(VALU_DEP_1) | instskip(NEXT) | instid1(VALU_DEP_1)
	v_lshl_add_u64 v[10:11], v[10:11], 2, s[12:13]
	v_lshl_add_u64 v[2:3], v[2:3], 2, v[10:11]
	s_delay_alu instid0(VALU_DEP_1)
	v_lshl_add_u64 v[10:11], s[16:17], 2, v[2:3]
	v_lshl_add_u64 v[12:13], s[24:25], 2, v[2:3]
	;; [unrolled: 1-line block ×3, first 2 shown]
	s_wait_dscnt 0x3
	global_store_b32 v[2:3], v0, off
	s_wait_dscnt 0x2
	global_store_b32 v[10:11], v16, off
	;; [unrolled: 2-line block ×4, first 2 shown]
	s_branch .LBB34_2
.LBB34_7:
	s_endpgm
	.section	.rodata,"a",@progbits
	.p2align	6, 0x0
	.amdhsa_kernel batched_transpose_64x32_pack_4x2_ediv_4x2_half
		.amdhsa_group_segment_fixed_size 4352
		.amdhsa_private_segment_fixed_size 0
		.amdhsa_kernarg_size 48
		.amdhsa_user_sgpr_count 2
		.amdhsa_user_sgpr_dispatch_ptr 0
		.amdhsa_user_sgpr_queue_ptr 0
		.amdhsa_user_sgpr_kernarg_segment_ptr 1
		.amdhsa_user_sgpr_dispatch_id 0
		.amdhsa_user_sgpr_kernarg_preload_length 0
		.amdhsa_user_sgpr_kernarg_preload_offset 0
		.amdhsa_user_sgpr_private_segment_size 0
		.amdhsa_wavefront_size32 1
		.amdhsa_uses_dynamic_stack 0
		.amdhsa_enable_private_segment 0
		.amdhsa_system_sgpr_workgroup_id_x 1
		.amdhsa_system_sgpr_workgroup_id_y 0
		.amdhsa_system_sgpr_workgroup_id_z 0
		.amdhsa_system_sgpr_workgroup_info 0
		.amdhsa_system_vgpr_workitem_id 0
		.amdhsa_next_free_vgpr 19
		.amdhsa_next_free_sgpr 36
		.amdhsa_named_barrier_count 0
		.amdhsa_reserve_vcc 1
		.amdhsa_float_round_mode_32 0
		.amdhsa_float_round_mode_16_64 0
		.amdhsa_float_denorm_mode_32 3
		.amdhsa_float_denorm_mode_16_64 3
		.amdhsa_fp16_overflow 0
		.amdhsa_memory_ordered 1
		.amdhsa_forward_progress 1
		.amdhsa_inst_pref_size 7
		.amdhsa_round_robin_scheduling 0
		.amdhsa_exception_fp_ieee_invalid_op 0
		.amdhsa_exception_fp_denorm_src 0
		.amdhsa_exception_fp_ieee_div_zero 0
		.amdhsa_exception_fp_ieee_overflow 0
		.amdhsa_exception_fp_ieee_underflow 0
		.amdhsa_exception_fp_ieee_inexact 0
		.amdhsa_exception_int_div_zero 0
	.end_amdhsa_kernel
	.text
.Lfunc_end34:
	.size	batched_transpose_64x32_pack_4x2_ediv_4x2_half, .Lfunc_end34-batched_transpose_64x32_pack_4x2_ediv_4x2_half
                                        ; -- End function
	.set batched_transpose_64x32_pack_4x2_ediv_4x2_half.num_vgpr, 19
	.set batched_transpose_64x32_pack_4x2_ediv_4x2_half.num_agpr, 0
	.set batched_transpose_64x32_pack_4x2_ediv_4x2_half.numbered_sgpr, 36
	.set batched_transpose_64x32_pack_4x2_ediv_4x2_half.num_named_barrier, 0
	.set batched_transpose_64x32_pack_4x2_ediv_4x2_half.private_seg_size, 0
	.set batched_transpose_64x32_pack_4x2_ediv_4x2_half.uses_vcc, 1
	.set batched_transpose_64x32_pack_4x2_ediv_4x2_half.uses_flat_scratch, 0
	.set batched_transpose_64x32_pack_4x2_ediv_4x2_half.has_dyn_sized_stack, 0
	.set batched_transpose_64x32_pack_4x2_ediv_4x2_half.has_recursion, 0
	.set batched_transpose_64x32_pack_4x2_ediv_4x2_half.has_indirect_call, 0
	.section	.AMDGPU.csdata,"",@progbits
; Kernel info:
; codeLenInByte = 812
; TotalNumSgprs: 38
; NumVgprs: 19
; ScratchSize: 0
; MemoryBound: 0
; FloatMode: 240
; IeeeMode: 1
; LDSByteSize: 4352 bytes/workgroup (compile time only)
; SGPRBlocks: 0
; VGPRBlocks: 1
; NumSGPRsForWavesPerEU: 38
; NumVGPRsForWavesPerEU: 19
; NamedBarCnt: 0
; Occupancy: 16
; WaveLimiterHint : 0
; COMPUTE_PGM_RSRC2:SCRATCH_EN: 0
; COMPUTE_PGM_RSRC2:USER_SGPR: 2
; COMPUTE_PGM_RSRC2:TRAP_HANDLER: 0
; COMPUTE_PGM_RSRC2:TGID_X_EN: 1
; COMPUTE_PGM_RSRC2:TGID_Y_EN: 0
; COMPUTE_PGM_RSRC2:TGID_Z_EN: 0
; COMPUTE_PGM_RSRC2:TIDIG_COMP_CNT: 0
	.text
	.protected	batched_transpose_64x32_pack_4x2_ediv_2x2_half ; -- Begin function batched_transpose_64x32_pack_4x2_ediv_2x2_half
	.globl	batched_transpose_64x32_pack_4x2_ediv_2x2_half
	.p2align	8
	.type	batched_transpose_64x32_pack_4x2_ediv_2x2_half,@function
batched_transpose_64x32_pack_4x2_ediv_2x2_half: ; @batched_transpose_64x32_pack_4x2_ediv_2x2_half
; %bb.0:
	s_load_b256 s[4:11], s[0:1], 0x10
	s_bfe_u32 s2, ttmp6, 0x4000c
	s_and_b32 s3, ttmp6, 15
	s_add_co_i32 s2, s2, 1
	s_getreg_b32 s12, hwreg(HW_REG_IB_STS2, 6, 4)
	s_mul_i32 s2, ttmp9, s2
	s_delay_alu instid0(SALU_CYCLE_1)
	s_add_co_i32 s3, s3, s2
	s_cmp_eq_u32 s12, 0
	s_cselect_b32 s2, ttmp9, s3
	s_mov_b32 s3, 0
	s_wait_kmcnt 0x0
	s_cmp_ge_u32 s2, s7
	s_cbranch_scc1 .LBB35_11
; %bb.1:
	v_dual_lshrrev_b32 v1, 4, v0 :: v_dual_bitop2_b32 v12, 15, v0 bitop3:0x40
	s_load_b128 s[12:15], s[0:1], 0x0
	v_and_b32_e32 v0, 0xf0, v0
	s_wait_xcnt 0x0
	s_add_co_i32 s0, s4, 31
	v_dual_lshlrev_b32 v13, 1, v1 :: v_dual_lshlrev_b32 v2, 4, v12
	s_lshr_b32 s1, s0, 5
	v_mad_u32_u24 v14, 0x110, v12, v0
	s_add_co_i32 s0, s5, 63
	s_mov_b32 s20, s10
	v_mad_u32_u24 v15, 0x110, v1, v2
	v_mov_b32_e32 v1, 0
	s_and_b32 s10, s0, 0xffffffc0
	s_lshr_b32 s0, s0, 1
	v_lshl_or_b32 v16, s2, 6, v13
	v_lshl_or_b32 v17, s2, 5, v12
	v_dual_mov_b32 v0, v1 :: v_dual_mov_b32 v2, v1
	v_mov_b32_e32 v3, v1
	s_lshr_b32 s16, s4, 1
	s_and_b32 s0, s0, 0x7fffffe0
	s_lshr_b32 s18, s5, 1
	s_mov_b32 s21, s3
	v_mov_b64_e32 v[4:5], v[2:3]
	v_mov_b64_e32 v[2:3], v[0:1]
	s_mov_b32 s22, s8
	s_mov_b32 s23, s3
	;; [unrolled: 1-line block ×5, first 2 shown]
	s_lshl_b32 s24, s16, 5
	s_mov_b32 s25, s3
	s_mul_i32 s26, s16, 33
	s_mov_b32 s27, s3
	s_sub_co_i32 s10, 0, s10
	s_lshl_b32 s30, s6, 6
	s_sub_co_i32 s31, 0, s0
	s_lshl_b32 s33, s6, 5
	s_branch .LBB35_3
.LBB35_2:                               ;   in Loop: Header=BB35_3 Depth=1
	s_wait_xcnt 0x0
	s_or_b32 exec_lo, exec_lo, s0
	v_dual_add_nc_u32 v16, s30, v16 :: v_dual_add_nc_u32 v17, s33, v17
	s_add_co_i32 s2, s2, s6
	s_delay_alu instid0(SALU_CYCLE_1)
	s_cmp_lt_u32 s2, s7
	s_cbranch_scc0 .LBB35_11
.LBB35_3:                               ; =>This Inner Loop Header: Depth=1
	s_mul_u64 s[28:29], s[20:21], s[2:3]
	s_wait_dscnt 0x0
	v_mov_b32_e32 v7, v1
	s_add_co_i32 s0, s2, s29
	s_mov_b32 s29, s3
	s_lshr_b32 s28, s0, s11
	s_delay_alu instid0(SALU_CYCLE_1)
	s_mul_u64 s[34:35], s[28:29], s[22:23]
	v_mad_u32 v6, s31, s28, v17
	s_add_co_i32 s0, s28, s35
	s_barrier_signal -1
	s_lshr_b32 s34, s0, s9
	s_barrier_wait -1
	s_mul_i32 s0, s34, s1
	s_delay_alu instid0(SALU_CYCLE_1) | instskip(NEXT) | instid1(SALU_CYCLE_1)
	s_sub_co_i32 s29, s28, s0
	v_lshl_or_b32 v0, s29, 5, v13
	s_delay_alu instid0(VALU_DEP_2) | instskip(NEXT) | instid1(VALU_DEP_2)
	v_cmp_gt_u32_e64 s0, s18, v6
	v_mad_nc_u64_u32 v[8:9], s34, s4, v[0:1]
	v_cmp_gt_u32_e32 vcc_lo, s4, v0
	s_and_b32 s35, vcc_lo, s0
	s_delay_alu instid0(VALU_DEP_2) | instskip(NEXT) | instid1(VALU_DEP_1)
	v_mad_nc_u64_u32 v[10:11], v8, s18, v[6:7]
	v_mad_u32 v11, v9, s18, v11
	s_wait_kmcnt 0x0
	s_delay_alu instid0(VALU_DEP_1) | instskip(NEXT) | instid1(VALU_DEP_1)
	v_lshl_add_u64 v[8:9], v[10:11], 2, s[14:15]
	v_lshl_add_u64 v[10:11], s[18:19], 2, v[8:9]
	s_and_saveexec_b32 s0, s35
	s_cbranch_execz .LBB35_5
; %bb.4:                                ;   in Loop: Header=BB35_3 Depth=1
	s_clause 0x1
	global_load_b32 v2, v[8:9], off
	global_load_b32 v3, v[10:11], off
.LBB35_5:                               ;   in Loop: Header=BB35_3 Depth=1
	s_wait_xcnt 0x0
	s_or_b32 exec_lo, exec_lo, s0
	v_add_nc_u32_e32 v0, 16, v6
	s_delay_alu instid0(VALU_DEP_1) | instskip(SKIP_1) | instid1(SALU_CYCLE_1)
	v_cmp_gt_u32_e64 s0, s18, v0
	s_and_b32 s35, vcc_lo, s0
	s_and_saveexec_b32 s0, s35
	s_cbranch_execz .LBB35_7
; %bb.6:                                ;   in Loop: Header=BB35_3 Depth=1
	s_clause 0x1
	global_load_b32 v4, v[8:9], off offset:64
	global_load_b32 v5, v[10:11], off offset:64
.LBB35_7:                               ;   in Loop: Header=BB35_3 Depth=1
	s_wait_xcnt 0x0
	s_or_b32 exec_lo, exec_lo, s0
	v_mad_u32 v0, s10, s28, v16
	s_wait_loadcnt 0x1
	v_dual_lshrrev_b32 v7, 16, v2 :: v_dual_lshrrev_b32 v8, 16, v4
	s_wait_loadcnt 0x0
	v_dual_mov_b32 v19, v1 :: v_dual_lshlrev_b32 v20, 16, v5
	v_and_b32_e32 v21, 0xffff, v4
	v_lshl_or_b32 v18, s29, 4, v12
	v_and_b32_e32 v6, 0xffff, v2
	v_and_b32_e32 v22, 0xffff0000, v3
	v_and_or_b32 v9, 0xffff0000, v5, v8
	v_or_b32_e32 v8, v21, v20
	v_mad_nc_u64_u32 v[10:11], s34, s8, v[0:1]
	v_lshl_or_b32 v6, v3, 16, v6
	v_or_b32_e32 v7, v22, v7
	v_cmp_gt_u32_e32 vcc_lo, s16, v18
	v_cmp_gt_u32_e64 s0, s5, v0
	ds_store_b128 v14, v[6:9]
	s_wait_dscnt 0x0
	s_barrier_signal -1
	s_barrier_wait -1
	v_mad_nc_u64_u32 v[20:21], v10, s16, v[18:19]
	ds_load_b64 v[6:7], v15 offset:8
	s_and_b32 s28, vcc_lo, s0
	v_mad_u32 v21, v11, s16, v21
	s_delay_alu instid0(VALU_DEP_1)
	v_lshl_add_u64 v[8:9], v[20:21], 2, s[12:13]
	s_and_saveexec_b32 s0, s28
	s_cbranch_execz .LBB35_9
; %bb.8:                                ;   in Loop: Header=BB35_3 Depth=1
	ds_load_b64 v[10:11], v15
	v_lshl_add_u64 v[18:19], s[16:17], 2, v[8:9]
	s_wait_dscnt 0x0
	s_clause 0x1
	global_store_b32 v[8:9], v10, off
	global_store_b32 v[18:19], v11, off
.LBB35_9:                               ;   in Loop: Header=BB35_3 Depth=1
	s_wait_xcnt 0x0
	s_or_b32 exec_lo, exec_lo, s0
	v_add_nc_u32_e32 v0, 32, v0
	s_delay_alu instid0(VALU_DEP_1) | instskip(SKIP_1) | instid1(SALU_CYCLE_1)
	v_cmp_gt_u32_e64 s0, s5, v0
	s_and_b32 s28, vcc_lo, s0
	s_and_saveexec_b32 s0, s28
	s_cbranch_execz .LBB35_2
; %bb.10:                               ;   in Loop: Header=BB35_3 Depth=1
	v_lshl_add_u64 v[10:11], s[24:25], 2, v[8:9]
	v_lshl_add_u64 v[8:9], s[26:27], 2, v[8:9]
	s_wait_dscnt 0x0
	s_clause 0x1
	global_store_b32 v[10:11], v6, off
	global_store_b32 v[8:9], v7, off
	s_branch .LBB35_2
.LBB35_11:
	s_endpgm
	.section	.rodata,"a",@progbits
	.p2align	6, 0x0
	.amdhsa_kernel batched_transpose_64x32_pack_4x2_ediv_2x2_half
		.amdhsa_group_segment_fixed_size 4352
		.amdhsa_private_segment_fixed_size 0
		.amdhsa_kernarg_size 48
		.amdhsa_user_sgpr_count 2
		.amdhsa_user_sgpr_dispatch_ptr 0
		.amdhsa_user_sgpr_queue_ptr 0
		.amdhsa_user_sgpr_kernarg_segment_ptr 1
		.amdhsa_user_sgpr_dispatch_id 0
		.amdhsa_user_sgpr_kernarg_preload_length 0
		.amdhsa_user_sgpr_kernarg_preload_offset 0
		.amdhsa_user_sgpr_private_segment_size 0
		.amdhsa_wavefront_size32 1
		.amdhsa_uses_dynamic_stack 0
		.amdhsa_enable_private_segment 0
		.amdhsa_system_sgpr_workgroup_id_x 1
		.amdhsa_system_sgpr_workgroup_id_y 0
		.amdhsa_system_sgpr_workgroup_id_z 0
		.amdhsa_system_sgpr_workgroup_info 0
		.amdhsa_system_vgpr_workitem_id 0
		.amdhsa_next_free_vgpr 23
		.amdhsa_next_free_sgpr 36
		.amdhsa_named_barrier_count 0
		.amdhsa_reserve_vcc 1
		.amdhsa_float_round_mode_32 0
		.amdhsa_float_round_mode_16_64 0
		.amdhsa_float_denorm_mode_32 3
		.amdhsa_float_denorm_mode_16_64 3
		.amdhsa_fp16_overflow 0
		.amdhsa_memory_ordered 1
		.amdhsa_forward_progress 1
		.amdhsa_inst_pref_size 7
		.amdhsa_round_robin_scheduling 0
		.amdhsa_exception_fp_ieee_invalid_op 0
		.amdhsa_exception_fp_denorm_src 0
		.amdhsa_exception_fp_ieee_div_zero 0
		.amdhsa_exception_fp_ieee_overflow 0
		.amdhsa_exception_fp_ieee_underflow 0
		.amdhsa_exception_fp_ieee_inexact 0
		.amdhsa_exception_int_div_zero 0
	.end_amdhsa_kernel
	.text
.Lfunc_end35:
	.size	batched_transpose_64x32_pack_4x2_ediv_2x2_half, .Lfunc_end35-batched_transpose_64x32_pack_4x2_ediv_2x2_half
                                        ; -- End function
	.set batched_transpose_64x32_pack_4x2_ediv_2x2_half.num_vgpr, 23
	.set batched_transpose_64x32_pack_4x2_ediv_2x2_half.num_agpr, 0
	.set batched_transpose_64x32_pack_4x2_ediv_2x2_half.numbered_sgpr, 36
	.set batched_transpose_64x32_pack_4x2_ediv_2x2_half.num_named_barrier, 0
	.set batched_transpose_64x32_pack_4x2_ediv_2x2_half.private_seg_size, 0
	.set batched_transpose_64x32_pack_4x2_ediv_2x2_half.uses_vcc, 1
	.set batched_transpose_64x32_pack_4x2_ediv_2x2_half.uses_flat_scratch, 0
	.set batched_transpose_64x32_pack_4x2_ediv_2x2_half.has_dyn_sized_stack, 0
	.set batched_transpose_64x32_pack_4x2_ediv_2x2_half.has_recursion, 0
	.set batched_transpose_64x32_pack_4x2_ediv_2x2_half.has_indirect_call, 0
	.section	.AMDGPU.csdata,"",@progbits
; Kernel info:
; codeLenInByte = 896
; TotalNumSgprs: 38
; NumVgprs: 23
; ScratchSize: 0
; MemoryBound: 0
; FloatMode: 240
; IeeeMode: 1
; LDSByteSize: 4352 bytes/workgroup (compile time only)
; SGPRBlocks: 0
; VGPRBlocks: 1
; NumSGPRsForWavesPerEU: 38
; NumVGPRsForWavesPerEU: 23
; NamedBarCnt: 0
; Occupancy: 16
; WaveLimiterHint : 0
; COMPUTE_PGM_RSRC2:SCRATCH_EN: 0
; COMPUTE_PGM_RSRC2:USER_SGPR: 2
; COMPUTE_PGM_RSRC2:TRAP_HANDLER: 0
; COMPUTE_PGM_RSRC2:TGID_X_EN: 1
; COMPUTE_PGM_RSRC2:TGID_Y_EN: 0
; COMPUTE_PGM_RSRC2:TGID_Z_EN: 0
; COMPUTE_PGM_RSRC2:TIDIG_COMP_CNT: 0
	.text
	.protected	batched_transpose_64x32_pack_4x2_ediv_2x1_half ; -- Begin function batched_transpose_64x32_pack_4x2_ediv_2x1_half
	.globl	batched_transpose_64x32_pack_4x2_ediv_2x1_half
	.p2align	8
	.type	batched_transpose_64x32_pack_4x2_ediv_2x1_half,@function
batched_transpose_64x32_pack_4x2_ediv_2x1_half: ; @batched_transpose_64x32_pack_4x2_ediv_2x1_half
; %bb.0:
	s_load_b256 s[4:11], s[0:1], 0x10
	s_bfe_u32 s2, ttmp6, 0x4000c
	s_and_b32 s3, ttmp6, 15
	s_add_co_i32 s2, s2, 1
	s_getreg_b32 s12, hwreg(HW_REG_IB_STS2, 6, 4)
	s_mul_i32 s2, ttmp9, s2
	s_delay_alu instid0(SALU_CYCLE_1)
	s_add_co_i32 s3, s3, s2
	s_cmp_eq_u32 s12, 0
	s_cselect_b32 s2, ttmp9, s3
	s_mov_b32 s3, 0
	s_wait_kmcnt 0x0
	s_cmp_ge_u32 s2, s7
	s_cbranch_scc1 .LBB36_19
; %bb.1:
	s_load_b128 s[12:15], s[0:1], 0x0
	v_dual_lshrrev_b32 v15, 4, v0 :: v_dual_bitop2_b32 v14, 15, v0 bitop3:0x40
	v_and_b32_e32 v0, 0xf0, v0
	s_lshr_b32 s30, s5, 1
	s_wait_xcnt 0x0
	s_mov_b32 s1, s3
	v_dual_lshlrev_b32 v1, 4, v14 :: v_dual_lshlrev_b32 v4, 1, v15
	v_mad_u32_u24 v16, 0x110, v14, v0
	s_lshl_b32 s0, s30, 4
	s_add_co_i32 s22, s4, 31
	s_delay_alu instid0(VALU_DEP_2)
	v_mad_u32_u24 v17, 0x110, v15, v1
	v_mov_b32_e32 v1, 0
	s_add_co_i32 s28, s5, 63
	s_lshl_b64 s[0:1], s[0:1], 2
	s_mov_b32 s18, s8
	s_lshr_b32 s8, s22, 5
	v_dual_mov_b32 v0, v1 :: v_dual_mov_b32 v2, v1
	v_mov_b32_e32 v3, v1
	s_wait_kmcnt 0x0
	s_add_nc_u64 s[22:23], s[14:15], s[0:1]
	s_and_b32 s0, s28, 0xffffffc0
	v_lshl_or_b32 v18, s2, 6, v4
	s_sub_co_i32 s31, 0, s0
	v_mov_b64_e32 v[4:5], v[2:3]
	v_mov_b64_e32 v[2:3], v[0:1]
	s_lshr_b32 s0, s28, 1
	v_lshl_or_b32 v19, s2, 5, v14
	s_and_b32 s0, s0, 0x7fffffe0
	s_mov_b32 s16, s10
	s_mov_b32 s17, s3
	;; [unrolled: 1-line block ×6, first 2 shown]
	s_lshl_b32 s24, s4, 5
	s_mov_b32 s25, s3
	s_mul_i32 s26, s4, 33
	s_mov_b32 s27, s3
	s_lshl_b32 s33, s6, 6
	s_sub_co_i32 s34, 0, s0
	s_lshl_b32 s35, s6, 5
	s_branch .LBB36_3
.LBB36_2:                               ;   in Loop: Header=BB36_3 Depth=1
	s_wait_xcnt 0x0
	s_or_b32 exec_lo, exec_lo, s0
	v_dual_add_nc_u32 v18, s33, v18 :: v_dual_add_nc_u32 v19, s35, v19
	s_add_co_i32 s2, s2, s6
	s_delay_alu instid0(SALU_CYCLE_1)
	s_cmp_lt_u32 s2, s7
	s_cbranch_scc0 .LBB36_19
.LBB36_3:                               ; =>This Inner Loop Header: Depth=1
	s_mul_u64 s[0:1], s[16:17], s[2:3]
	s_mov_b32 s29, s3
	s_add_co_i32 s0, s2, s1
	s_delay_alu instid0(SALU_CYCLE_1)
	s_lshr_b32 s28, s0, s11
	s_barrier_signal -1
	s_mul_u64 s[0:1], s[28:29], s[18:19]
	v_mad_u32 v8, s34, s28, v19
	s_add_co_i32 s0, s28, s1
	s_barrier_wait -1
	s_lshr_b32 s36, s0, s9
	s_delay_alu instid0(SALU_CYCLE_1) | instskip(SKIP_2) | instid1(SALU_CYCLE_1)
	s_mul_i32 s0, s36, s8
	v_mov_b32_e32 v9, v1
	s_sub_co_i32 s0, s28, s0
	s_lshl_b32 s29, s0, 5
	s_delay_alu instid0(SALU_CYCLE_1) | instskip(NEXT) | instid1(VALU_DEP_3)
	v_or_b32_e32 v0, s29, v15
	v_cmp_gt_u32_e32 vcc_lo, s30, v8
	s_delay_alu instid0(VALU_DEP_2) | instskip(SKIP_4) | instid1(VALU_DEP_1)
	v_mad_nc_u64_u32 v[10:11], s36, s20, v[0:1]
	v_cmp_gt_u32_e64 s1, s4, v0
	s_and_b32 s37, s1, vcc_lo
	s_wait_dscnt 0x1
	v_mad_nc_u64_u32 v[6:7], v10, s30, v[8:9]
	v_mad_u32 v7, v11, s30, v7
	s_delay_alu instid0(VALU_DEP_1)
	v_lshl_add_u64 v[10:11], v[6:7], 2, s[14:15]
	s_and_saveexec_b32 s0, s37
	s_cbranch_execz .LBB36_5
; %bb.4:                                ;   in Loop: Header=BB36_3 Depth=1
	global_load_b32 v2, v[10:11], off
.LBB36_5:                               ;   in Loop: Header=BB36_3 Depth=1
	s_wait_xcnt 0x0
	s_or_b32 exec_lo, exec_lo, s0
	v_add_nc_u32_e32 v8, 16, v8
	s_delay_alu instid0(VALU_DEP_1) | instskip(SKIP_1) | instid1(SALU_CYCLE_1)
	v_cmp_gt_u32_e64 s0, s30, v8
	s_and_b32 s37, s1, s0
	s_and_saveexec_b32 s1, s37
	s_cbranch_execz .LBB36_7
; %bb.6:                                ;   in Loop: Header=BB36_3 Depth=1
	global_load_b32 v4, v[10:11], off offset:64
.LBB36_7:                               ;   in Loop: Header=BB36_3 Depth=1
	s_wait_xcnt 0x0
	s_or_b32 exec_lo, exec_lo, s1
	v_add_nc_u32_e32 v0, 16, v0
	v_lshl_add_u64 v[6:7], v[6:7], 2, s[22:23]
	s_delay_alu instid0(VALU_DEP_2) | instskip(SKIP_1) | instid1(SALU_CYCLE_1)
	v_cmp_gt_u32_e64 s1, s4, v0
	s_and_b32 s38, s1, vcc_lo
	s_and_saveexec_b32 s37, s38
	s_cbranch_execz .LBB36_9
; %bb.8:                                ;   in Loop: Header=BB36_3 Depth=1
	global_load_b32 v3, v[6:7], off
.LBB36_9:                               ;   in Loop: Header=BB36_3 Depth=1
	s_wait_xcnt 0x0
	s_or_b32 exec_lo, exec_lo, s37
	s_and_b32 s1, s1, s0
	s_delay_alu instid0(SALU_CYCLE_1)
	s_and_saveexec_b32 s0, s1
	s_cbranch_execz .LBB36_11
; %bb.10:                               ;   in Loop: Header=BB36_3 Depth=1
	global_load_b32 v5, v[6:7], off offset:64
.LBB36_11:                              ;   in Loop: Header=BB36_3 Depth=1
	s_wait_xcnt 0x0
	s_or_b32 exec_lo, exec_lo, s0
	v_mad_u32 v0, s31, s28, v18
	s_wait_loadcnt 0x0
	v_dual_lshrrev_b32 v11, 16, v2 :: v_dual_lshlrev_b32 v12, 16, v5
	v_dual_lshrrev_b32 v13, 16, v4 :: v_dual_bitop2_b32 v8, s29, v14 bitop3:0x54
	s_wait_dscnt 0x0
	v_and_b32_e32 v20, 0xffff, v4
	v_mov_b32_e32 v9, v1
	v_and_b32_e32 v10, 0xffff, v2
	v_and_b32_e32 v21, 0xffff0000, v3
	v_and_or_b32 v13, 0xffff0000, v5, v13
	v_or_b32_e32 v12, v20, v12
	v_mad_nc_u64_u32 v[6:7], s36, s10, v[0:1]
	v_lshl_or_b32 v10, v3, 16, v10
	v_or_b32_e32 v11, v21, v11
	v_cmp_gt_u32_e32 vcc_lo, s4, v8
	v_cmp_gt_u32_e64 s1, s5, v0
	ds_store_b128 v16, v[10:13]
	s_wait_dscnt 0x0
	s_barrier_signal -1
	s_barrier_wait -1
	v_mad_nc_u64_u32 v[22:23], v6, s20, v[8:9]
	s_and_b32 s28, vcc_lo, s1
	s_delay_alu instid0(VALU_DEP_1) | instskip(SKIP_4) | instid1(VALU_DEP_1)
	v_mad_u32 v23, v7, s20, v23
	ds_load_u16 v9, v17 offset:2
	ds_load_b64 v[6:7], v17 offset:6
	ds_load_u16 v20, v17 offset:14
	v_lshl_add_u64 v[10:11], v[22:23], 1, s[12:13]
	v_lshl_add_u64 v[12:13], s[20:21], 1, v[10:11]
	s_and_saveexec_b32 s0, s28
	s_cbranch_execz .LBB36_13
; %bb.12:                               ;   in Loop: Header=BB36_3 Depth=1
	ds_load_u16 v21, v17
	ds_load_u16 v22, v17 offset:4
	s_wait_dscnt 0x1
	global_store_b16 v[10:11], v21, off
	s_wait_dscnt 0x0
	global_store_b16 v[12:13], v22, off
.LBB36_13:                              ;   in Loop: Header=BB36_3 Depth=1
	s_wait_xcnt 0x0
	s_or_b32 exec_lo, exec_lo, s0
	v_or_b32_e32 v8, 16, v8
	s_delay_alu instid0(VALU_DEP_1) | instskip(SKIP_1) | instid1(SALU_CYCLE_1)
	v_cmp_gt_u32_e64 s0, s4, v8
	s_and_b32 s28, s0, s1
	s_and_saveexec_b32 s1, s28
	s_cbranch_execz .LBB36_15
; %bb.14:                               ;   in Loop: Header=BB36_3 Depth=1
	s_wait_dscnt 0x2
	global_store_b16 v[10:11], v9, off offset:32
	s_wait_dscnt 0x1
	global_store_b16 v[12:13], v6, off offset:32
.LBB36_15:                              ;   in Loop: Header=BB36_3 Depth=1
	s_wait_xcnt 0x0
	s_or_b32 exec_lo, exec_lo, s1
	v_add_nc_u32_e32 v0, 32, v0
	s_wait_dscnt 0x2
	v_lshl_add_u64 v[8:9], s[26:27], 1, v[10:11]
	v_lshl_add_u64 v[10:11], s[24:25], 1, v[10:11]
	s_delay_alu instid0(VALU_DEP_3) | instskip(SKIP_1) | instid1(SALU_CYCLE_1)
	v_cmp_gt_u32_e64 s1, s5, v0
	s_and_b32 s29, vcc_lo, s1
	s_and_saveexec_b32 s28, s29
	s_cbranch_execz .LBB36_17
; %bb.16:                               ;   in Loop: Header=BB36_3 Depth=1
	s_wait_dscnt 0x1
	s_clause 0x1
	global_store_d16_hi_b16 v[10:11], v6, off
	global_store_d16_hi_b16 v[8:9], v7, off
.LBB36_17:                              ;   in Loop: Header=BB36_3 Depth=1
	s_wait_xcnt 0x0
	s_or_b32 exec_lo, exec_lo, s28
	s_and_b32 s1, s0, s1
	s_delay_alu instid0(SALU_CYCLE_1)
	s_and_saveexec_b32 s0, s1
	s_cbranch_execz .LBB36_2
; %bb.18:                               ;   in Loop: Header=BB36_3 Depth=1
	s_wait_dscnt 0x1
	global_store_b16 v[10:11], v7, off offset:32
	s_wait_dscnt 0x0
	global_store_b16 v[8:9], v20, off offset:32
	s_branch .LBB36_2
.LBB36_19:
	s_endpgm
	.section	.rodata,"a",@progbits
	.p2align	6, 0x0
	.amdhsa_kernel batched_transpose_64x32_pack_4x2_ediv_2x1_half
		.amdhsa_group_segment_fixed_size 4352
		.amdhsa_private_segment_fixed_size 0
		.amdhsa_kernarg_size 48
		.amdhsa_user_sgpr_count 2
		.amdhsa_user_sgpr_dispatch_ptr 0
		.amdhsa_user_sgpr_queue_ptr 0
		.amdhsa_user_sgpr_kernarg_segment_ptr 1
		.amdhsa_user_sgpr_dispatch_id 0
		.amdhsa_user_sgpr_kernarg_preload_length 0
		.amdhsa_user_sgpr_kernarg_preload_offset 0
		.amdhsa_user_sgpr_private_segment_size 0
		.amdhsa_wavefront_size32 1
		.amdhsa_uses_dynamic_stack 0
		.amdhsa_enable_private_segment 0
		.amdhsa_system_sgpr_workgroup_id_x 1
		.amdhsa_system_sgpr_workgroup_id_y 0
		.amdhsa_system_sgpr_workgroup_id_z 0
		.amdhsa_system_sgpr_workgroup_info 0
		.amdhsa_system_vgpr_workitem_id 0
		.amdhsa_next_free_vgpr 24
		.amdhsa_next_free_sgpr 39
		.amdhsa_named_barrier_count 0
		.amdhsa_reserve_vcc 1
		.amdhsa_float_round_mode_32 0
		.amdhsa_float_round_mode_16_64 0
		.amdhsa_float_denorm_mode_32 3
		.amdhsa_float_denorm_mode_16_64 3
		.amdhsa_fp16_overflow 0
		.amdhsa_memory_ordered 1
		.amdhsa_forward_progress 1
		.amdhsa_inst_pref_size 9
		.amdhsa_round_robin_scheduling 0
		.amdhsa_exception_fp_ieee_invalid_op 0
		.amdhsa_exception_fp_denorm_src 0
		.amdhsa_exception_fp_ieee_div_zero 0
		.amdhsa_exception_fp_ieee_overflow 0
		.amdhsa_exception_fp_ieee_underflow 0
		.amdhsa_exception_fp_ieee_inexact 0
		.amdhsa_exception_int_div_zero 0
	.end_amdhsa_kernel
	.text
.Lfunc_end36:
	.size	batched_transpose_64x32_pack_4x2_ediv_2x1_half, .Lfunc_end36-batched_transpose_64x32_pack_4x2_ediv_2x1_half
                                        ; -- End function
	.set batched_transpose_64x32_pack_4x2_ediv_2x1_half.num_vgpr, 24
	.set batched_transpose_64x32_pack_4x2_ediv_2x1_half.num_agpr, 0
	.set batched_transpose_64x32_pack_4x2_ediv_2x1_half.numbered_sgpr, 39
	.set batched_transpose_64x32_pack_4x2_ediv_2x1_half.num_named_barrier, 0
	.set batched_transpose_64x32_pack_4x2_ediv_2x1_half.private_seg_size, 0
	.set batched_transpose_64x32_pack_4x2_ediv_2x1_half.uses_vcc, 1
	.set batched_transpose_64x32_pack_4x2_ediv_2x1_half.uses_flat_scratch, 0
	.set batched_transpose_64x32_pack_4x2_ediv_2x1_half.has_dyn_sized_stack, 0
	.set batched_transpose_64x32_pack_4x2_ediv_2x1_half.has_recursion, 0
	.set batched_transpose_64x32_pack_4x2_ediv_2x1_half.has_indirect_call, 0
	.section	.AMDGPU.csdata,"",@progbits
; Kernel info:
; codeLenInByte = 1116
; TotalNumSgprs: 41
; NumVgprs: 24
; ScratchSize: 0
; MemoryBound: 0
; FloatMode: 240
; IeeeMode: 1
; LDSByteSize: 4352 bytes/workgroup (compile time only)
; SGPRBlocks: 0
; VGPRBlocks: 1
; NumSGPRsForWavesPerEU: 41
; NumVGPRsForWavesPerEU: 24
; NamedBarCnt: 0
; Occupancy: 16
; WaveLimiterHint : 0
; COMPUTE_PGM_RSRC2:SCRATCH_EN: 0
; COMPUTE_PGM_RSRC2:USER_SGPR: 2
; COMPUTE_PGM_RSRC2:TRAP_HANDLER: 0
; COMPUTE_PGM_RSRC2:TGID_X_EN: 1
; COMPUTE_PGM_RSRC2:TGID_Y_EN: 0
; COMPUTE_PGM_RSRC2:TGID_Z_EN: 0
; COMPUTE_PGM_RSRC2:TIDIG_COMP_CNT: 0
	.text
	.protected	batched_transpose_32x64_pack_2x4_ediv_2x4_half ; -- Begin function batched_transpose_32x64_pack_2x4_ediv_2x4_half
	.globl	batched_transpose_32x64_pack_2x4_ediv_2x4_half
	.p2align	8
	.type	batched_transpose_32x64_pack_2x4_ediv_2x4_half,@function
batched_transpose_32x64_pack_2x4_ediv_2x4_half: ; @batched_transpose_32x64_pack_2x4_ediv_2x4_half
; %bb.0:
	s_load_b256 s[4:11], s[0:1], 0x10
	s_bfe_u32 s2, ttmp6, 0x4000c
	s_and_b32 s3, ttmp6, 15
	s_add_co_i32 s2, s2, 1
	s_getreg_b32 s12, hwreg(HW_REG_IB_STS2, 6, 4)
	s_mul_i32 s2, ttmp9, s2
	s_delay_alu instid0(SALU_CYCLE_1)
	s_add_co_i32 s3, s3, s2
	s_cmp_eq_u32 s12, 0
	s_cselect_b32 s2, ttmp9, s3
	s_mov_b32 s3, 0
	s_wait_kmcnt 0x0
	s_cmp_ge_u32 s2, s7
	s_cbranch_scc1 .LBB37_7
; %bb.1:
	s_load_b128 s[12:15], s[0:1], 0x0
	v_dual_lshrrev_b32 v1, 4, v0 :: v_dual_bitop2_b32 v4, 15, v0 bitop3:0x40
	v_and_b32_e32 v0, 0xf0, v0
	s_wait_xcnt 0x0
	s_add_co_i32 s0, s4, 63
	s_mov_b32 s20, s10
	v_dual_lshlrev_b32 v5, 2, v1 :: v_dual_lshlrev_b32 v2, 4, v4
	v_mad_u32_u24 v6, 0x110, v4, v0
	v_lshlrev_b32_e32 v0, 1, v1
	s_lshr_b32 s1, s0, 6
	s_add_co_i32 s0, s5, 31
	v_mad_u32_u24 v7, 0x110, v1, v2
	s_and_b32 s10, s0, 0xffffffe0
	s_lshr_b32 s0, s0, 1
	v_lshl_or_b32 v9, s2, 4, v4
	v_mov_b32_e32 v1, 0
	v_lshl_or_b32 v8, s2, 5, v0
	s_lshr_b32 s18, s5, 1
	s_and_b32 s0, s0, 0x7ffffff0
	s_lshr_b32 s16, s4, 2
	s_mov_b32 s21, s3
	s_mov_b32 s22, s8
	;; [unrolled: 1-line block ×4, first 2 shown]
	s_and_b32 s24, s5, -2
	s_mov_b32 s25, s3
	s_mul_i32 s26, s18, 3
	s_mov_b32 s27, s3
	s_mov_b32 s8, s5
	;; [unrolled: 1-line block ×3, first 2 shown]
	s_sub_co_i32 s10, 0, s10
	s_lshl_b32 s30, s6, 5
	s_sub_co_i32 s31, 0, s0
	s_lshl_b32 s33, s6, 4
	s_branch .LBB37_3
.LBB37_2:                               ;   in Loop: Header=BB37_3 Depth=1
	s_wait_xcnt 0x0
	s_or_b32 exec_lo, exec_lo, s0
	v_dual_add_nc_u32 v8, s30, v8 :: v_dual_add_nc_u32 v9, s33, v9
	s_add_co_i32 s2, s2, s6
	s_delay_alu instid0(SALU_CYCLE_1)
	s_cmp_lt_u32 s2, s7
	s_cbranch_scc0 .LBB37_7
.LBB37_3:                               ; =>This Inner Loop Header: Depth=1
	s_mul_u64 s[28:29], s[20:21], s[2:3]
	s_delay_alu instid0(SALU_CYCLE_1)
	s_add_co_i32 s0, s2, s29
	s_mov_b32 s29, s3
	s_lshr_b32 s28, s0, s11
	s_barrier_signal -1
	s_mul_u64 s[34:35], s[28:29], s[22:23]
	v_mad_u32 v2, s31, s28, v9
	s_add_co_i32 s0, s28, s35
	s_barrier_wait -1
	s_lshr_b32 s29, s0, s9
	s_delay_alu instid0(SALU_CYCLE_1) | instskip(NEXT) | instid1(SALU_CYCLE_1)
	s_mul_i32 s0, s29, s1
	s_sub_co_i32 s34, s28, s0
	s_delay_alu instid0(SALU_CYCLE_1) | instskip(NEXT) | instid1(VALU_DEP_2)
	v_lshl_or_b32 v0, s34, 6, v5
	v_cmp_gt_u32_e64 s0, s18, v2
	s_delay_alu instid0(VALU_DEP_2) | instskip(SKIP_1) | instid1(SALU_CYCLE_1)
	v_cmp_gt_u32_e32 vcc_lo, s4, v0
	s_and_b32 s35, vcc_lo, s0
	s_and_saveexec_b32 s0, s35
	s_cbranch_execz .LBB37_5
; %bb.4:                                ;   in Loop: Header=BB37_3 Depth=1
	v_mad_nc_u64_u32 v[10:11], s29, s4, v[0:1]
	v_mov_b32_e32 v3, v1
	s_delay_alu instid0(VALU_DEP_2) | instskip(SKIP_1) | instid1(VALU_DEP_1)
	v_mul_u64_e32 v[10:11], s[18:19], v[10:11]
	s_wait_kmcnt 0x0
	v_lshl_add_u64 v[10:11], v[10:11], 2, s[14:15]
	s_delay_alu instid0(VALU_DEP_1) | instskip(NEXT) | instid1(VALU_DEP_1)
	v_lshl_add_u64 v[2:3], v[2:3], 2, v[10:11]
	v_lshl_add_u64 v[10:11], s[24:25], 2, v[2:3]
	;; [unrolled: 1-line block ×4, first 2 shown]
	s_clause 0x3
	global_load_b32 v0, v[2:3], off
	global_load_b32 v16, v[10:11], off
	;; [unrolled: 1-line block ×4, first 2 shown]
	s_wait_loadcnt 0x3
	s_wait_xcnt 0x3
	v_and_b32_e32 v2, 0xffff, v0
	v_lshrrev_b32_e32 v0, 16, v0
	s_wait_loadcnt 0x2
	v_and_b32_e32 v3, 0xffff, v16
	s_wait_loadcnt 0x0
	s_wait_xcnt 0x1
	v_dual_lshlrev_b32 v10, 16, v17 :: v_dual_lshlrev_b32 v12, 16, v18
	v_lshrrev_b32_e32 v13, 16, v16
	s_wait_xcnt 0x0
	v_and_b32_e32 v14, 0xffff0000, v17
	v_and_b32_e32 v15, 0xffff0000, v18
	v_or_b32_e32 v11, v10, v3
	v_or_b32_e32 v10, v12, v2
	s_delay_alu instid0(VALU_DEP_4) | instskip(NEXT) | instid1(VALU_DEP_4)
	v_or_b32_e32 v13, v14, v13
	v_or_b32_e32 v12, v15, v0
	ds_store_b128 v6, v[10:13]
.LBB37_5:                               ;   in Loop: Header=BB37_3 Depth=1
	s_or_b32 exec_lo, exec_lo, s0
	v_mad_u32 v0, s10, s28, v8
	v_lshl_or_b32 v2, s34, 4, v4
	s_wait_dscnt 0x0
	s_barrier_signal -1
	s_barrier_wait -1
	s_delay_alu instid0(VALU_DEP_1) | instskip(NEXT) | instid1(VALU_DEP_3)
	v_cmp_gt_u32_e32 vcc_lo, s16, v2
	v_cmp_gt_u32_e64 s0, s5, v0
	s_and_b32 s28, vcc_lo, s0
	s_delay_alu instid0(SALU_CYCLE_1)
	s_and_saveexec_b32 s0, s28
	s_cbranch_execz .LBB37_2
; %bb.6:                                ;   in Loop: Header=BB37_3 Depth=1
	v_mad_nc_u64_u32 v[10:11], s29, s8, v[0:1]
	v_mov_b32_e32 v3, v1
	s_delay_alu instid0(VALU_DEP_2) | instskip(SKIP_3) | instid1(VALU_DEP_1)
	v_mul_u64_e32 v[14:15], s[16:17], v[10:11]
	ds_load_b128 v[10:13], v7
	s_wait_kmcnt 0x0
	v_lshl_add_u64 v[14:15], v[14:15], 3, s[12:13]
	v_lshl_add_u64 v[2:3], v[2:3], 3, v[14:15]
	s_delay_alu instid0(VALU_DEP_1)
	v_lshl_add_u64 v[14:15], s[16:17], 3, v[2:3]
	s_wait_dscnt 0x0
	s_clause 0x1
	global_store_b64 v[2:3], v[10:11], off
	global_store_b64 v[14:15], v[12:13], off
	s_branch .LBB37_2
.LBB37_7:
	s_endpgm
	.section	.rodata,"a",@progbits
	.p2align	6, 0x0
	.amdhsa_kernel batched_transpose_32x64_pack_2x4_ediv_2x4_half
		.amdhsa_group_segment_fixed_size 4352
		.amdhsa_private_segment_fixed_size 0
		.amdhsa_kernarg_size 48
		.amdhsa_user_sgpr_count 2
		.amdhsa_user_sgpr_dispatch_ptr 0
		.amdhsa_user_sgpr_queue_ptr 0
		.amdhsa_user_sgpr_kernarg_segment_ptr 1
		.amdhsa_user_sgpr_dispatch_id 0
		.amdhsa_user_sgpr_kernarg_preload_length 0
		.amdhsa_user_sgpr_kernarg_preload_offset 0
		.amdhsa_user_sgpr_private_segment_size 0
		.amdhsa_wavefront_size32 1
		.amdhsa_uses_dynamic_stack 0
		.amdhsa_enable_private_segment 0
		.amdhsa_system_sgpr_workgroup_id_x 1
		.amdhsa_system_sgpr_workgroup_id_y 0
		.amdhsa_system_sgpr_workgroup_id_z 0
		.amdhsa_system_sgpr_workgroup_info 0
		.amdhsa_system_vgpr_workitem_id 0
		.amdhsa_next_free_vgpr 19
		.amdhsa_next_free_sgpr 36
		.amdhsa_named_barrier_count 0
		.amdhsa_reserve_vcc 1
		.amdhsa_float_round_mode_32 0
		.amdhsa_float_round_mode_16_64 0
		.amdhsa_float_denorm_mode_32 3
		.amdhsa_float_denorm_mode_16_64 3
		.amdhsa_fp16_overflow 0
		.amdhsa_memory_ordered 1
		.amdhsa_forward_progress 1
		.amdhsa_inst_pref_size 7
		.amdhsa_round_robin_scheduling 0
		.amdhsa_exception_fp_ieee_invalid_op 0
		.amdhsa_exception_fp_denorm_src 0
		.amdhsa_exception_fp_ieee_div_zero 0
		.amdhsa_exception_fp_ieee_overflow 0
		.amdhsa_exception_fp_ieee_underflow 0
		.amdhsa_exception_fp_ieee_inexact 0
		.amdhsa_exception_int_div_zero 0
	.end_amdhsa_kernel
	.text
.Lfunc_end37:
	.size	batched_transpose_32x64_pack_2x4_ediv_2x4_half, .Lfunc_end37-batched_transpose_32x64_pack_2x4_ediv_2x4_half
                                        ; -- End function
	.set batched_transpose_32x64_pack_2x4_ediv_2x4_half.num_vgpr, 19
	.set batched_transpose_32x64_pack_2x4_ediv_2x4_half.num_agpr, 0
	.set batched_transpose_32x64_pack_2x4_ediv_2x4_half.numbered_sgpr, 36
	.set batched_transpose_32x64_pack_2x4_ediv_2x4_half.num_named_barrier, 0
	.set batched_transpose_32x64_pack_2x4_ediv_2x4_half.private_seg_size, 0
	.set batched_transpose_32x64_pack_2x4_ediv_2x4_half.uses_vcc, 1
	.set batched_transpose_32x64_pack_2x4_ediv_2x4_half.uses_flat_scratch, 0
	.set batched_transpose_32x64_pack_2x4_ediv_2x4_half.has_dyn_sized_stack, 0
	.set batched_transpose_32x64_pack_2x4_ediv_2x4_half.has_recursion, 0
	.set batched_transpose_32x64_pack_2x4_ediv_2x4_half.has_indirect_call, 0
	.section	.AMDGPU.csdata,"",@progbits
; Kernel info:
; codeLenInByte = 784
; TotalNumSgprs: 38
; NumVgprs: 19
; ScratchSize: 0
; MemoryBound: 0
; FloatMode: 240
; IeeeMode: 1
; LDSByteSize: 4352 bytes/workgroup (compile time only)
; SGPRBlocks: 0
; VGPRBlocks: 1
; NumSGPRsForWavesPerEU: 38
; NumVGPRsForWavesPerEU: 19
; NamedBarCnt: 0
; Occupancy: 16
; WaveLimiterHint : 0
; COMPUTE_PGM_RSRC2:SCRATCH_EN: 0
; COMPUTE_PGM_RSRC2:USER_SGPR: 2
; COMPUTE_PGM_RSRC2:TRAP_HANDLER: 0
; COMPUTE_PGM_RSRC2:TGID_X_EN: 1
; COMPUTE_PGM_RSRC2:TGID_Y_EN: 0
; COMPUTE_PGM_RSRC2:TGID_Z_EN: 0
; COMPUTE_PGM_RSRC2:TIDIG_COMP_CNT: 0
	.text
	.protected	batched_transpose_32x64_pack_2x4_ediv_2x2_half ; -- Begin function batched_transpose_32x64_pack_2x4_ediv_2x2_half
	.globl	batched_transpose_32x64_pack_2x4_ediv_2x2_half
	.p2align	8
	.type	batched_transpose_32x64_pack_2x4_ediv_2x2_half,@function
batched_transpose_32x64_pack_2x4_ediv_2x2_half: ; @batched_transpose_32x64_pack_2x4_ediv_2x2_half
; %bb.0:
	s_load_b256 s[4:11], s[0:1], 0x10
	s_bfe_u32 s2, ttmp6, 0x4000c
	s_and_b32 s3, ttmp6, 15
	s_add_co_i32 s2, s2, 1
	s_getreg_b32 s12, hwreg(HW_REG_IB_STS2, 6, 4)
	s_mul_i32 s2, ttmp9, s2
	s_delay_alu instid0(SALU_CYCLE_1)
	s_add_co_i32 s3, s3, s2
	s_cmp_eq_u32 s12, 0
	s_cselect_b32 s2, ttmp9, s3
	s_mov_b32 s3, 0
	s_wait_kmcnt 0x0
	s_cmp_ge_u32 s2, s7
	s_cbranch_scc1 .LBB38_11
; %bb.1:
	v_dual_lshrrev_b32 v2, 4, v0 :: v_dual_bitop2_b32 v14, 15, v0 bitop3:0x40
	v_and_b32_e32 v0, 0xf0, v0
	s_load_b128 s[12:15], s[0:1], 0x0
	s_wait_xcnt 0x0
	s_add_co_i32 s0, s4, 63
	v_dual_lshlrev_b32 v15, 1, v2 :: v_dual_mov_b32 v1, 0
	v_mad_u32_u24 v16, 0x110, v14, v0
	v_lshlrev_b32_e32 v0, 4, v14
	s_lshr_b32 s1, s0, 6
	s_add_co_i32 s0, s5, 31
	v_mov_b32_e32 v3, v1
	s_mov_b32 s20, s10
	v_mad_u32_u24 v17, 0x110, v2, v0
	v_dual_mov_b32 v0, v1 :: v_dual_mov_b32 v2, v1
	s_and_b32 s10, s0, 0xffffffe0
	s_lshr_b32 s0, s0, 1
	v_lshl_or_b32 v18, s2, 5, v15
	v_lshl_or_b32 v19, s2, 4, v14
	v_mov_b64_e32 v[4:5], v[2:3]
	v_mov_b64_e32 v[2:3], v[0:1]
	s_lshr_b32 s18, s5, 1
	s_and_b32 s0, s0, 0x7ffffff0
	s_lshr_b32 s16, s4, 1
	s_mov_b32 s21, s3
	s_mov_b32 s22, s8
	;; [unrolled: 1-line block ×4, first 2 shown]
	s_lshl_b32 s24, s18, 5
	s_mov_b32 s25, s3
	s_mul_i32 s26, s18, 33
	s_mov_b32 s27, s3
	s_mov_b32 s8, s5
	;; [unrolled: 1-line block ×3, first 2 shown]
	s_sub_co_i32 s10, 0, s10
	s_lshl_b32 s30, s6, 5
	s_sub_co_i32 s31, 0, s0
	s_lshl_b32 s33, s6, 4
	s_branch .LBB38_3
.LBB38_2:                               ;   in Loop: Header=BB38_3 Depth=1
	s_wait_xcnt 0x0
	s_or_b32 exec_lo, exec_lo, s0
	v_dual_add_nc_u32 v18, s30, v18 :: v_dual_add_nc_u32 v19, s33, v19
	s_add_co_i32 s2, s2, s6
	s_delay_alu instid0(SALU_CYCLE_1)
	s_cmp_lt_u32 s2, s7
	s_cbranch_scc0 .LBB38_11
.LBB38_3:                               ; =>This Inner Loop Header: Depth=1
	s_mul_u64 s[28:29], s[20:21], s[2:3]
	v_mov_b32_e32 v7, v1
	s_add_co_i32 s0, s2, s29
	s_mov_b32 s29, s3
	s_lshr_b32 s28, s0, s11
	s_delay_alu instid0(SALU_CYCLE_1)
	s_mul_u64 s[34:35], s[28:29], s[22:23]
	v_mad_u32 v6, s31, s28, v19
	s_add_co_i32 s0, s28, s35
	s_barrier_signal -1
	s_lshr_b32 s34, s0, s9
	s_barrier_wait -1
	s_mul_i32 s0, s34, s1
	s_delay_alu instid0(SALU_CYCLE_1) | instskip(NEXT) | instid1(SALU_CYCLE_1)
	s_sub_co_i32 s29, s28, s0
	v_lshl_or_b32 v0, s29, 6, v15
	s_delay_alu instid0(VALU_DEP_2) | instskip(SKIP_1) | instid1(VALU_DEP_2)
	v_cmp_gt_u32_e32 vcc_lo, s18, v6
	s_wait_dscnt 0x0
	v_mad_nc_u64_u32 v[8:9], s34, s4, v[0:1]
	v_cmp_gt_u32_e64 s0, s4, v0
	s_and_b32 s35, s0, vcc_lo
	v_mad_nc_u64_u32 v[10:11], v8, s18, v[6:7]
	s_delay_alu instid0(VALU_DEP_1) | instskip(SKIP_1) | instid1(VALU_DEP_1)
	v_mad_u32 v11, v9, s18, v11
	s_wait_kmcnt 0x0
	v_lshl_add_u64 v[6:7], v[10:11], 2, s[14:15]
	s_and_saveexec_b32 s0, s35
	s_cbranch_execz .LBB38_5
; %bb.4:                                ;   in Loop: Header=BB38_3 Depth=1
	s_delay_alu instid0(VALU_DEP_1)
	v_lshl_add_u64 v[8:9], s[18:19], 2, v[6:7]
	s_clause 0x1
	global_load_b32 v2, v[6:7], off
	global_load_b32 v3, v[8:9], off
.LBB38_5:                               ;   in Loop: Header=BB38_3 Depth=1
	s_wait_xcnt 0x0
	s_or_b32 exec_lo, exec_lo, s0
	v_add_nc_u32_e32 v0, 32, v0
	s_delay_alu instid0(VALU_DEP_1) | instskip(SKIP_1) | instid1(SALU_CYCLE_1)
	v_cmp_gt_u32_e64 s0, s4, v0
	s_and_b32 s35, s0, vcc_lo
	s_and_saveexec_b32 s0, s35
	s_cbranch_execz .LBB38_7
; %bb.6:                                ;   in Loop: Header=BB38_3 Depth=1
	v_lshl_add_u64 v[8:9], s[24:25], 2, v[6:7]
	v_lshl_add_u64 v[6:7], s[26:27], 2, v[6:7]
	s_clause 0x1
	global_load_b32 v4, v[8:9], off
	global_load_b32 v5, v[6:7], off
.LBB38_7:                               ;   in Loop: Header=BB38_3 Depth=1
	s_wait_xcnt 0x0
	s_or_b32 exec_lo, exec_lo, s0
	v_mad_u32 v0, s10, s28, v18
	s_wait_loadcnt 0x1
	v_and_b32_e32 v8, 0xffff, v4
	v_and_b32_e32 v10, 0xffff, v2
	s_wait_loadcnt 0x0
	v_dual_lshlrev_b32 v9, 16, v5 :: v_dual_lshlrev_b32 v11, 16, v3
	v_dual_lshrrev_b32 v20, 16, v4 :: v_dual_lshrrev_b32 v22, 16, v2
	v_and_b32_e32 v21, 0xffff0000, v5
	v_lshl_or_b32 v6, s29, 5, v14
	v_mov_b32_e32 v7, v1
	v_or_b32_e32 v9, v9, v8
	v_mad_nc_u64_u32 v[12:13], s34, s8, v[0:1]
	v_or_b32_e32 v8, v11, v10
	v_or_b32_e32 v11, v21, v20
	v_and_b32_e32 v23, 0xffff0000, v3
	v_cmp_gt_u32_e64 s0, s16, v6
	v_cmp_gt_u32_e32 vcc_lo, s5, v0
	s_delay_alu instid0(VALU_DEP_3)
	v_or_b32_e32 v10, v23, v22
	s_and_b32 s28, s0, vcc_lo
	v_mad_nc_u64_u32 v[20:21], v12, s16, v[6:7]
	ds_store_b128 v16, v[8:11]
	s_wait_dscnt 0x0
	s_barrier_signal -1
	s_barrier_wait -1
	ds_load_2addr_b32 v[8:9], v17 offset0:1 offset1:3
	v_mad_u32 v21, v13, s16, v21
	s_delay_alu instid0(VALU_DEP_1) | instskip(NEXT) | instid1(VALU_DEP_1)
	v_lshl_add_u64 v[10:11], v[20:21], 2, s[12:13]
	v_lshl_add_u64 v[12:13], s[16:17], 2, v[10:11]
	s_and_saveexec_b32 s0, s28
	s_cbranch_execz .LBB38_9
; %bb.8:                                ;   in Loop: Header=BB38_3 Depth=1
	ds_load_2addr_b32 v[20:21], v17 offset1:2
	s_wait_dscnt 0x0
	s_clause 0x1
	global_store_b32 v[10:11], v20, off
	global_store_b32 v[12:13], v21, off
.LBB38_9:                               ;   in Loop: Header=BB38_3 Depth=1
	s_wait_xcnt 0x0
	s_or_b32 exec_lo, exec_lo, s0
	v_or_b32_e32 v0, 16, v6
	s_delay_alu instid0(VALU_DEP_1) | instskip(SKIP_1) | instid1(SALU_CYCLE_1)
	v_cmp_gt_u32_e64 s0, s16, v0
	s_and_b32 s28, s0, vcc_lo
	s_and_saveexec_b32 s0, s28
	s_cbranch_execz .LBB38_2
; %bb.10:                               ;   in Loop: Header=BB38_3 Depth=1
	s_wait_dscnt 0x0
	s_clause 0x1
	global_store_b32 v[10:11], v8, off offset:64
	global_store_b32 v[12:13], v9, off offset:64
	s_branch .LBB38_2
.LBB38_11:
	s_endpgm
	.section	.rodata,"a",@progbits
	.p2align	6, 0x0
	.amdhsa_kernel batched_transpose_32x64_pack_2x4_ediv_2x2_half
		.amdhsa_group_segment_fixed_size 4352
		.amdhsa_private_segment_fixed_size 0
		.amdhsa_kernarg_size 48
		.amdhsa_user_sgpr_count 2
		.amdhsa_user_sgpr_dispatch_ptr 0
		.amdhsa_user_sgpr_queue_ptr 0
		.amdhsa_user_sgpr_kernarg_segment_ptr 1
		.amdhsa_user_sgpr_dispatch_id 0
		.amdhsa_user_sgpr_kernarg_preload_length 0
		.amdhsa_user_sgpr_kernarg_preload_offset 0
		.amdhsa_user_sgpr_private_segment_size 0
		.amdhsa_wavefront_size32 1
		.amdhsa_uses_dynamic_stack 0
		.amdhsa_enable_private_segment 0
		.amdhsa_system_sgpr_workgroup_id_x 1
		.amdhsa_system_sgpr_workgroup_id_y 0
		.amdhsa_system_sgpr_workgroup_id_z 0
		.amdhsa_system_sgpr_workgroup_info 0
		.amdhsa_system_vgpr_workitem_id 0
		.amdhsa_next_free_vgpr 24
		.amdhsa_next_free_sgpr 36
		.amdhsa_named_barrier_count 0
		.amdhsa_reserve_vcc 1
		.amdhsa_float_round_mode_32 0
		.amdhsa_float_round_mode_16_64 0
		.amdhsa_float_denorm_mode_32 3
		.amdhsa_float_denorm_mode_16_64 3
		.amdhsa_fp16_overflow 0
		.amdhsa_memory_ordered 1
		.amdhsa_forward_progress 1
		.amdhsa_inst_pref_size 8
		.amdhsa_round_robin_scheduling 0
		.amdhsa_exception_fp_ieee_invalid_op 0
		.amdhsa_exception_fp_denorm_src 0
		.amdhsa_exception_fp_ieee_div_zero 0
		.amdhsa_exception_fp_ieee_overflow 0
		.amdhsa_exception_fp_ieee_underflow 0
		.amdhsa_exception_fp_ieee_inexact 0
		.amdhsa_exception_int_div_zero 0
	.end_amdhsa_kernel
	.text
.Lfunc_end38:
	.size	batched_transpose_32x64_pack_2x4_ediv_2x2_half, .Lfunc_end38-batched_transpose_32x64_pack_2x4_ediv_2x2_half
                                        ; -- End function
	.set batched_transpose_32x64_pack_2x4_ediv_2x2_half.num_vgpr, 24
	.set batched_transpose_32x64_pack_2x4_ediv_2x2_half.num_agpr, 0
	.set batched_transpose_32x64_pack_2x4_ediv_2x2_half.numbered_sgpr, 36
	.set batched_transpose_32x64_pack_2x4_ediv_2x2_half.num_named_barrier, 0
	.set batched_transpose_32x64_pack_2x4_ediv_2x2_half.private_seg_size, 0
	.set batched_transpose_32x64_pack_2x4_ediv_2x2_half.uses_vcc, 1
	.set batched_transpose_32x64_pack_2x4_ediv_2x2_half.uses_flat_scratch, 0
	.set batched_transpose_32x64_pack_2x4_ediv_2x2_half.has_dyn_sized_stack, 0
	.set batched_transpose_32x64_pack_2x4_ediv_2x2_half.has_recursion, 0
	.set batched_transpose_32x64_pack_2x4_ediv_2x2_half.has_indirect_call, 0
	.section	.AMDGPU.csdata,"",@progbits
; Kernel info:
; codeLenInByte = 904
; TotalNumSgprs: 38
; NumVgprs: 24
; ScratchSize: 0
; MemoryBound: 0
; FloatMode: 240
; IeeeMode: 1
; LDSByteSize: 4352 bytes/workgroup (compile time only)
; SGPRBlocks: 0
; VGPRBlocks: 1
; NumSGPRsForWavesPerEU: 38
; NumVGPRsForWavesPerEU: 24
; NamedBarCnt: 0
; Occupancy: 16
; WaveLimiterHint : 0
; COMPUTE_PGM_RSRC2:SCRATCH_EN: 0
; COMPUTE_PGM_RSRC2:USER_SGPR: 2
; COMPUTE_PGM_RSRC2:TRAP_HANDLER: 0
; COMPUTE_PGM_RSRC2:TGID_X_EN: 1
; COMPUTE_PGM_RSRC2:TGID_Y_EN: 0
; COMPUTE_PGM_RSRC2:TGID_Z_EN: 0
; COMPUTE_PGM_RSRC2:TIDIG_COMP_CNT: 0
	.text
	.protected	batched_transpose_32x64_pack_2x4_ediv_1x2_half ; -- Begin function batched_transpose_32x64_pack_2x4_ediv_1x2_half
	.globl	batched_transpose_32x64_pack_2x4_ediv_1x2_half
	.p2align	8
	.type	batched_transpose_32x64_pack_2x4_ediv_1x2_half,@function
batched_transpose_32x64_pack_2x4_ediv_1x2_half: ; @batched_transpose_32x64_pack_2x4_ediv_1x2_half
; %bb.0:
	s_load_b256 s[4:11], s[0:1], 0x10
	s_bfe_u32 s2, ttmp6, 0x4000c
	s_and_b32 s3, ttmp6, 15
	s_add_co_i32 s2, s2, 1
	s_getreg_b32 s12, hwreg(HW_REG_IB_STS2, 6, 4)
	s_mul_i32 s2, ttmp9, s2
	s_delay_alu instid0(SALU_CYCLE_1)
	s_add_co_i32 s3, s3, s2
	s_cmp_eq_u32 s12, 0
	s_cselect_b32 s2, ttmp9, s3
	s_mov_b32 s3, 0
	s_wait_kmcnt 0x0
	s_cmp_ge_u32 s2, s7
	s_cbranch_scc1 .LBB39_19
; %bb.1:
	v_dual_lshrrev_b32 v14, 4, v0 :: v_dual_bitop2_b32 v15, 15, v0 bitop3:0x40
	s_load_b128 s[12:15], s[0:1], 0x0
	v_and_b32_e32 v0, 0xf0, v0
	s_wait_xcnt 0x0
	s_add_co_i32 s0, s4, 63
	v_dual_mov_b32 v1, 0 :: v_dual_lshlrev_b32 v16, 1, v14
	v_lshlrev_b32_e32 v4, 4, v15
	v_mad_u32_u24 v17, 0x110, v15, v0
	s_lshr_b32 s28, s4, 1
	s_lshr_b32 s29, s0, 6
	v_dual_mov_b32 v2, v1 :: v_dual_mov_b32 v3, v1
	v_mov_b32_e32 v0, v1
	v_mad_u32_u24 v18, 0x110, v14, v4
	s_add_co_i32 s30, s5, 31
	s_lshl_b32 s0, s28, 4
	v_mov_b64_e32 v[4:5], v[2:3]
	v_mov_b64_e32 v[2:3], v[0:1]
	s_mov_b32 s1, s3
	s_and_not1_b32 s30, s30, 31
	s_lshl_b64 s[0:1], s[0:1], 2
	s_mov_b32 s16, s10
	s_mov_b32 s17, s3
	;; [unrolled: 1-line block ×6, first 2 shown]
	s_lshl_b32 s22, s5, 5
	s_mov_b32 s23, s3
	s_mul_i32 s24, s5, 33
	s_mov_b32 s25, s3
	s_wait_kmcnt 0x0
	s_add_nc_u64 s[26:27], s[12:13], s[0:1]
	s_sub_co_i32 s8, 0, s30
	s_lshl_b32 s10, s2, 5
	s_lshl_b32 s30, s6, 5
	s_branch .LBB39_3
.LBB39_2:                               ;   in Loop: Header=BB39_3 Depth=1
	s_wait_xcnt 0x0
	s_or_b32 exec_lo, exec_lo, s0
	s_add_co_i32 s2, s2, s6
	s_add_co_i32 s10, s10, s30
	s_cmp_lt_u32 s2, s7
	s_cbranch_scc0 .LBB39_19
.LBB39_3:                               ; =>This Inner Loop Header: Depth=1
	s_mul_u64 s[0:1], s[16:17], s[2:3]
	s_wait_dscnt 0x1
	v_mov_b32_e32 v9, v1
	s_add_co_i32 s0, s2, s1
	s_mov_b32 s1, s3
	s_lshr_b32 s0, s0, s11
	s_delay_alu instid0(SALU_CYCLE_1)
	s_mul_u64 s[34:35], s[0:1], s[18:19]
	s_mul_i32 s34, s8, s0
	s_add_co_i32 s1, s0, s35
	v_add3_u32 v8, s34, s10, v15
	s_lshr_b32 s33, s1, s9
	s_barrier_signal -1
	s_mul_i32 s1, s33, s29
	s_barrier_wait -1
	s_sub_co_i32 s31, s0, s1
	v_cmp_gt_u32_e32 vcc_lo, s5, v8
	v_lshl_or_b32 v0, s31, 6, v16
	s_delay_alu instid0(VALU_DEP_1) | instskip(SKIP_4) | instid1(VALU_DEP_1)
	v_mad_nc_u64_u32 v[6:7], s33, s4, v[0:1]
	v_cmp_gt_u32_e64 s1, s4, v0
	s_and_b32 s35, s1, vcc_lo
	s_wait_dscnt 0x0
	v_mad_nc_u64_u32 v[10:11], v6, s20, v[8:9]
	v_mad_u32 v11, v7, s20, v11
	s_delay_alu instid0(VALU_DEP_1) | instskip(NEXT) | instid1(VALU_DEP_1)
	v_lshl_add_u64 v[6:7], v[10:11], 1, s[14:15]
	v_lshl_add_u64 v[10:11], s[20:21], 1, v[6:7]
	s_and_saveexec_b32 s0, s35
	s_cbranch_execz .LBB39_5
; %bb.4:                                ;   in Loop: Header=BB39_3 Depth=1
	s_clause 0x1
	global_load_u16 v9, v[6:7], off
	global_load_u16 v12, v[10:11], off
	s_wait_loadcnt 0x1
	v_bfi_b32 v2, 0xffff, v9, v2
	s_wait_loadcnt 0x0
	v_bfi_b32 v3, 0xffff, v12, v3
.LBB39_5:                               ;   in Loop: Header=BB39_3 Depth=1
	s_wait_xcnt 0x0
	s_or_b32 exec_lo, exec_lo, s0
	v_add_nc_u32_e32 v8, 16, v8
	s_delay_alu instid0(VALU_DEP_1) | instskip(SKIP_1) | instid1(SALU_CYCLE_1)
	v_cmp_gt_u32_e64 s0, s5, v8
	s_and_b32 s35, s1, s0
	s_and_saveexec_b32 s1, s35
	s_cbranch_execz .LBB39_7
; %bb.6:                                ;   in Loop: Header=BB39_3 Depth=1
	s_clause 0x1
	global_load_u16 v8, v[6:7], off offset:32
	global_load_u16 v9, v[10:11], off offset:32
	s_wait_loadcnt 0x1
	v_perm_b32 v2, v8, v2, 0x5040100
	s_wait_loadcnt 0x0
	v_perm_b32 v3, v9, v3, 0x5040100
.LBB39_7:                               ;   in Loop: Header=BB39_3 Depth=1
	s_wait_xcnt 0x0
	s_or_b32 exec_lo, exec_lo, s1
	v_add_nc_u32_e32 v0, 32, v0
	v_lshl_add_u64 v[8:9], s[24:25], 1, v[6:7]
	v_lshl_add_u64 v[6:7], s[22:23], 1, v[6:7]
	s_delay_alu instid0(VALU_DEP_3) | instskip(SKIP_1) | instid1(SALU_CYCLE_1)
	v_cmp_gt_u32_e64 s1, s4, v0
	s_and_b32 s36, s1, vcc_lo
	s_and_saveexec_b32 s35, s36
	s_cbranch_execz .LBB39_9
; %bb.8:                                ;   in Loop: Header=BB39_3 Depth=1
	s_clause 0x1
	global_load_u16 v0, v[6:7], off
	global_load_u16 v10, v[8:9], off
	s_wait_loadcnt 0x1
	v_bfi_b32 v4, 0xffff, v0, v4
	s_wait_loadcnt 0x0
	v_bfi_b32 v5, 0xffff, v10, v5
.LBB39_9:                               ;   in Loop: Header=BB39_3 Depth=1
	s_wait_xcnt 0x0
	s_or_b32 exec_lo, exec_lo, s35
	s_and_b32 s1, s1, s0
	s_delay_alu instid0(SALU_CYCLE_1)
	s_and_saveexec_b32 s0, s1
	s_cbranch_execz .LBB39_11
; %bb.10:                               ;   in Loop: Header=BB39_3 Depth=1
	s_clause 0x1
	global_load_u16 v0, v[6:7], off offset:32
	global_load_u16 v10, v[8:9], off offset:32
	s_wait_loadcnt 0x1
	v_perm_b32 v4, v0, v4, 0x5040100
	s_wait_loadcnt 0x0
	v_perm_b32 v5, v10, v5, 0x5040100
.LBB39_11:                              ;   in Loop: Header=BB39_3 Depth=1
	s_wait_xcnt 0x0
	s_or_b32 exec_lo, exec_lo, s0
	v_add3_u32 v0, s34, s10, v14
	s_delay_alu instid0(VALU_DEP_2) | instskip(SKIP_2) | instid1(VALU_DEP_4)
	v_dual_lshrrev_b32 v6, 16, v2 :: v_dual_lshlrev_b32 v9, 16, v5
	v_and_b32_e32 v7, 0xffff0000, v3
	v_lshl_or_b32 v10, s31, 5, v15
	v_mad_nc_u64_u32 v[12:13], s33, s20, v[0:1]
	v_mov_b32_e32 v11, v1
	v_and_b32_e32 v8, 0xffff, v4
	v_or_b32_e32 v22, v7, v6
	v_perm_b32 v20, v2, v3, 0x1000504
	v_perm_b32 v23, v4, v5, 0x3020706
	v_cmp_gt_u32_e32 vcc_lo, s28, v10
	v_or_b32_e32 v21, v9, v8
	v_cmp_gt_u32_e64 s1, s5, v0
	v_mad_nc_u64_u32 v[6:7], v12, s28, v[10:11]
	ds_store_b128 v17, v[20:23]
	s_wait_dscnt 0x0
	s_barrier_signal -1
	s_barrier_wait -1
	ds_load_2addr_b32 v[8:9], v18 offset0:1 offset1:2
	ds_load_b32 v11, v18 offset:12
	s_and_b32 s31, s1, vcc_lo
	v_mad_u32 v7, v13, s28, v7
	s_delay_alu instid0(VALU_DEP_1)
	v_lshl_add_u64 v[12:13], v[6:7], 2, s[12:13]
	s_and_saveexec_b32 s0, s31
	s_cbranch_execz .LBB39_13
; %bb.12:                               ;   in Loop: Header=BB39_3 Depth=1
	ds_load_b32 v19, v18
	s_wait_dscnt 0x0
	global_store_b32 v[12:13], v19, off
.LBB39_13:                              ;   in Loop: Header=BB39_3 Depth=1
	s_wait_xcnt 0x0
	s_or_b32 exec_lo, exec_lo, s0
	v_or_b32_e32 v10, 16, v10
	s_delay_alu instid0(VALU_DEP_1) | instskip(SKIP_1) | instid1(SALU_CYCLE_1)
	v_cmp_gt_u32_e64 s0, s28, v10
	s_and_b32 s31, s1, s0
	s_and_saveexec_b32 s1, s31
	s_cbranch_execz .LBB39_15
; %bb.14:                               ;   in Loop: Header=BB39_3 Depth=1
	s_wait_dscnt 0x1
	global_store_b32 v[12:13], v8, off offset:64
.LBB39_15:                              ;   in Loop: Header=BB39_3 Depth=1
	s_wait_xcnt 0x0
	s_or_b32 exec_lo, exec_lo, s1
	v_add_nc_u32_e32 v0, 16, v0
	v_lshl_add_u64 v[6:7], v[6:7], 2, s[26:27]
	s_delay_alu instid0(VALU_DEP_2) | instskip(SKIP_1) | instid1(SALU_CYCLE_1)
	v_cmp_gt_u32_e64 s1, s5, v0
	s_and_b32 s33, s1, vcc_lo
	s_and_saveexec_b32 s31, s33
	s_cbranch_execz .LBB39_17
; %bb.16:                               ;   in Loop: Header=BB39_3 Depth=1
	s_wait_dscnt 0x1
	global_store_b32 v[6:7], v9, off
.LBB39_17:                              ;   in Loop: Header=BB39_3 Depth=1
	s_wait_xcnt 0x0
	s_or_b32 exec_lo, exec_lo, s31
	s_and_b32 s1, s1, s0
	s_delay_alu instid0(SALU_CYCLE_1)
	s_and_saveexec_b32 s0, s1
	s_cbranch_execz .LBB39_2
; %bb.18:                               ;   in Loop: Header=BB39_3 Depth=1
	s_wait_dscnt 0x0
	global_store_b32 v[6:7], v11, off offset:64
	s_branch .LBB39_2
.LBB39_19:
	s_endpgm
	.section	.rodata,"a",@progbits
	.p2align	6, 0x0
	.amdhsa_kernel batched_transpose_32x64_pack_2x4_ediv_1x2_half
		.amdhsa_group_segment_fixed_size 4352
		.amdhsa_private_segment_fixed_size 0
		.amdhsa_kernarg_size 48
		.amdhsa_user_sgpr_count 2
		.amdhsa_user_sgpr_dispatch_ptr 0
		.amdhsa_user_sgpr_queue_ptr 0
		.amdhsa_user_sgpr_kernarg_segment_ptr 1
		.amdhsa_user_sgpr_dispatch_id 0
		.amdhsa_user_sgpr_kernarg_preload_length 0
		.amdhsa_user_sgpr_kernarg_preload_offset 0
		.amdhsa_user_sgpr_private_segment_size 0
		.amdhsa_wavefront_size32 1
		.amdhsa_uses_dynamic_stack 0
		.amdhsa_enable_private_segment 0
		.amdhsa_system_sgpr_workgroup_id_x 1
		.amdhsa_system_sgpr_workgroup_id_y 0
		.amdhsa_system_sgpr_workgroup_id_z 0
		.amdhsa_system_sgpr_workgroup_info 0
		.amdhsa_system_vgpr_workitem_id 0
		.amdhsa_next_free_vgpr 24
		.amdhsa_next_free_sgpr 37
		.amdhsa_named_barrier_count 0
		.amdhsa_reserve_vcc 1
		.amdhsa_float_round_mode_32 0
		.amdhsa_float_round_mode_16_64 0
		.amdhsa_float_denorm_mode_32 3
		.amdhsa_float_denorm_mode_16_64 3
		.amdhsa_fp16_overflow 0
		.amdhsa_memory_ordered 1
		.amdhsa_forward_progress 1
		.amdhsa_inst_pref_size 9
		.amdhsa_round_robin_scheduling 0
		.amdhsa_exception_fp_ieee_invalid_op 0
		.amdhsa_exception_fp_denorm_src 0
		.amdhsa_exception_fp_ieee_div_zero 0
		.amdhsa_exception_fp_ieee_overflow 0
		.amdhsa_exception_fp_ieee_underflow 0
		.amdhsa_exception_fp_ieee_inexact 0
		.amdhsa_exception_int_div_zero 0
	.end_amdhsa_kernel
	.text
.Lfunc_end39:
	.size	batched_transpose_32x64_pack_2x4_ediv_1x2_half, .Lfunc_end39-batched_transpose_32x64_pack_2x4_ediv_1x2_half
                                        ; -- End function
	.set batched_transpose_32x64_pack_2x4_ediv_1x2_half.num_vgpr, 24
	.set batched_transpose_32x64_pack_2x4_ediv_1x2_half.num_agpr, 0
	.set batched_transpose_32x64_pack_2x4_ediv_1x2_half.numbered_sgpr, 37
	.set batched_transpose_32x64_pack_2x4_ediv_1x2_half.num_named_barrier, 0
	.set batched_transpose_32x64_pack_2x4_ediv_1x2_half.private_seg_size, 0
	.set batched_transpose_32x64_pack_2x4_ediv_1x2_half.uses_vcc, 1
	.set batched_transpose_32x64_pack_2x4_ediv_1x2_half.uses_flat_scratch, 0
	.set batched_transpose_32x64_pack_2x4_ediv_1x2_half.has_dyn_sized_stack, 0
	.set batched_transpose_32x64_pack_2x4_ediv_1x2_half.has_recursion, 0
	.set batched_transpose_32x64_pack_2x4_ediv_1x2_half.has_indirect_call, 0
	.section	.AMDGPU.csdata,"",@progbits
; Kernel info:
; codeLenInByte = 1148
; TotalNumSgprs: 39
; NumVgprs: 24
; ScratchSize: 0
; MemoryBound: 0
; FloatMode: 240
; IeeeMode: 1
; LDSByteSize: 4352 bytes/workgroup (compile time only)
; SGPRBlocks: 0
; VGPRBlocks: 1
; NumSGPRsForWavesPerEU: 39
; NumVGPRsForWavesPerEU: 24
; NamedBarCnt: 0
; Occupancy: 16
; WaveLimiterHint : 0
; COMPUTE_PGM_RSRC2:SCRATCH_EN: 0
; COMPUTE_PGM_RSRC2:USER_SGPR: 2
; COMPUTE_PGM_RSRC2:TRAP_HANDLER: 0
; COMPUTE_PGM_RSRC2:TGID_X_EN: 1
; COMPUTE_PGM_RSRC2:TGID_Y_EN: 0
; COMPUTE_PGM_RSRC2:TGID_Z_EN: 0
; COMPUTE_PGM_RSRC2:TIDIG_COMP_CNT: 0
	.text
	.protected	batched_transpose_16x64_pack_1x4_ediv_1x2_half ; -- Begin function batched_transpose_16x64_pack_1x4_ediv_1x2_half
	.globl	batched_transpose_16x64_pack_1x4_ediv_1x2_half
	.p2align	8
	.type	batched_transpose_16x64_pack_1x4_ediv_1x2_half,@function
batched_transpose_16x64_pack_1x4_ediv_1x2_half: ; @batched_transpose_16x64_pack_1x4_ediv_1x2_half
; %bb.0:
	s_load_b256 s[4:11], s[0:1], 0x10
	s_bfe_u32 s2, ttmp6, 0x4000c
	s_and_b32 s3, ttmp6, 15
	s_add_co_i32 s2, s2, 1
	s_getreg_b32 s12, hwreg(HW_REG_IB_STS2, 6, 4)
	s_mul_i32 s2, ttmp9, s2
	s_delay_alu instid0(SALU_CYCLE_1)
	s_add_co_i32 s3, s3, s2
	s_cmp_eq_u32 s12, 0
	s_cselect_b32 s2, ttmp9, s3
	s_mov_b32 s3, 0
	s_wait_kmcnt 0x0
	s_cmp_ge_u32 s2, s7
	s_cbranch_scc1 .LBB40_11
; %bb.1:
	s_load_b128 s[12:15], s[0:1], 0x0
	v_dual_lshrrev_b32 v6, 4, v0 :: v_dual_bitop2_b32 v7, 15, v0 bitop3:0x40
	s_wait_xcnt 0x0
	s_add_co_i32 s0, s4, 63
	s_lshr_b32 s1, s4, 1
	s_lshr_b32 s26, s0, 6
	v_dual_lshlrev_b32 v8, 1, v6 :: v_dual_lshlrev_b32 v0, 2, v6
	v_lshlrev_b32_e32 v1, 2, v7
	s_add_co_i32 s0, s5, 15
	s_mov_b32 s16, s10
	s_and_b32 s0, s0, -16
	v_mad_u32_u24 v9, 0x44, v7, v0
	v_mad_u32_u24 v10, 0x44, v6, v1
	v_mov_b32_e32 v1, 0
	s_mov_b32 s17, s3
	s_mov_b32 s18, s8
	;; [unrolled: 1-line block ×5, first 2 shown]
	s_lshl_b32 s22, s5, 5
	s_mov_b32 s23, s3
	s_mul_i32 s24, s5, 33
	s_mov_b32 s25, s3
	s_sub_co_i32 s8, 0, s0
	s_lshl_b32 s10, s2, 4
	s_lshl_b32 s27, s6, 4
                                        ; implicit-def: $vgpr14
                                        ; implicit-def: $vgpr13
                                        ; implicit-def: $vgpr11
                                        ; implicit-def: $vgpr12
	s_branch .LBB40_3
.LBB40_2:                               ;   in Loop: Header=BB40_3 Depth=1
	s_wait_xcnt 0x0
	s_or_b32 exec_lo, exec_lo, s0
	s_add_co_i32 s2, s2, s6
	s_add_co_i32 s10, s10, s27
	s_cmp_lt_u32 s2, s7
	s_cbranch_scc0 .LBB40_11
.LBB40_3:                               ; =>This Inner Loop Header: Depth=1
	s_mul_u64 s[28:29], s[16:17], s[2:3]
	s_mov_b32 s31, s3
	s_add_co_i32 s0, s2, s29
	v_mov_b32_e32 v5, v1
	s_lshr_b32 s30, s0, s11
	s_delay_alu instid0(SALU_CYCLE_1) | instskip(SKIP_4) | instid1(SALU_CYCLE_1)
	s_mul_u64 s[28:29], s[30:31], s[18:19]
	s_barrier_signal -1
	s_add_co_i32 s0, s30, s29
	s_barrier_wait -1
	s_lshr_b32 s29, s0, s9
	s_mul_i32 s0, s29, s26
	s_delay_alu instid0(SALU_CYCLE_1) | instskip(SKIP_4) | instid1(VALU_DEP_2)
	s_sub_co_i32 s28, s30, s0
	s_mul_i32 s30, s8, s30
	v_lshl_or_b32 v0, s28, 6, v8
	v_add3_u32 v4, s30, s10, v7
	s_wait_dscnt 0x0
	v_mad_nc_u64_u32 v[2:3], s29, s4, v[0:1]
	v_cmp_gt_u32_e64 s0, s4, v0
	s_delay_alu instid0(VALU_DEP_3) | instskip(SKIP_2) | instid1(VALU_DEP_1)
	v_cmp_gt_u32_e32 vcc_lo, s5, v4
	s_and_b32 s31, s0, vcc_lo
	v_mad_nc_u64_u32 v[16:17], v2, s20, v[4:5]
	v_mad_u32 v17, v3, s20, v17
	s_wait_kmcnt 0x0
	s_delay_alu instid0(VALU_DEP_1)
	v_lshl_add_u64 v[2:3], v[16:17], 1, s[14:15]
	s_and_saveexec_b32 s0, s31
	s_cbranch_execz .LBB40_5
; %bb.4:                                ;   in Loop: Header=BB40_3 Depth=1
	s_delay_alu instid0(VALU_DEP_1)
	v_lshl_add_u64 v[4:5], s[20:21], 1, v[2:3]
	s_clause 0x1
	global_load_u16 v12, v[2:3], off
	global_load_u16 v11, v[4:5], off
.LBB40_5:                               ;   in Loop: Header=BB40_3 Depth=1
	s_wait_xcnt 0x0
	s_or_b32 exec_lo, exec_lo, s0
	v_add_nc_u32_e32 v0, 32, v0
	s_delay_alu instid0(VALU_DEP_1) | instskip(SKIP_1) | instid1(SALU_CYCLE_1)
	v_cmp_gt_u32_e64 s0, s4, v0
	s_and_b32 s31, s0, vcc_lo
	s_and_saveexec_b32 s0, s31
	s_cbranch_execz .LBB40_7
; %bb.6:                                ;   in Loop: Header=BB40_3 Depth=1
	v_lshl_add_u64 v[4:5], s[22:23], 1, v[2:3]
	v_lshl_add_u64 v[2:3], s[24:25], 1, v[2:3]
	s_clause 0x1
	global_load_u16 v13, v[4:5], off
	global_load_u16 v14, v[2:3], off
.LBB40_7:                               ;   in Loop: Header=BB40_3 Depth=1
	s_wait_xcnt 0x0
	s_or_b32 exec_lo, exec_lo, s0
	v_add3_u32 v0, s30, s10, v6
	s_wait_loadcnt 0x0
	v_dual_lshlrev_b32 v15, 16, v11 :: v_dual_lshlrev_b32 v17, 16, v14
	v_and_b32_e32 v16, 0xffff, v12
	v_and_b32_e32 v18, 0xffff, v13
	v_mad_nc_u64_u32 v[4:5], s29, s20, v[0:1]
	v_lshl_or_b32 v2, s28, 5, v7
	s_delay_alu instid0(VALU_DEP_4) | instskip(NEXT) | instid1(VALU_DEP_4)
	v_dual_mov_b32 v3, v1 :: v_dual_bitop2_b32 v15, v15, v16 bitop3:0x54
	v_or_b32_e32 v18, v17, v18
	ds_store_b32 v9, v15
	ds_store_b32 v9, v18 offset:1088
	s_wait_dscnt 0x0
	s_barrier_signal -1
	v_mad_nc_u64_u32 v[16:17], v4, s1, v[2:3]
	s_barrier_wait -1
	ds_load_b32 v3, v10 offset:1088
	v_cmp_gt_u32_e64 s0, s1, v2
	v_cmp_gt_u32_e32 vcc_lo, s5, v0
	s_and_b32 s28, vcc_lo, s0
	v_mad_u32 v17, v5, s1, v17
	s_delay_alu instid0(VALU_DEP_1)
	v_lshl_add_u64 v[4:5], v[16:17], 2, s[12:13]
	s_and_saveexec_b32 s0, s28
	s_cbranch_execz .LBB40_9
; %bb.8:                                ;   in Loop: Header=BB40_3 Depth=1
	ds_load_b32 v0, v10
	s_wait_dscnt 0x0
	global_store_b32 v[4:5], v0, off
.LBB40_9:                               ;   in Loop: Header=BB40_3 Depth=1
	s_wait_xcnt 0x0
	s_or_b32 exec_lo, exec_lo, s0
	v_or_b32_e32 v0, 16, v2
	s_delay_alu instid0(VALU_DEP_1) | instskip(SKIP_1) | instid1(SALU_CYCLE_1)
	v_cmp_gt_u32_e64 s0, s1, v0
	s_and_b32 s28, vcc_lo, s0
	s_and_saveexec_b32 s0, s28
	s_cbranch_execz .LBB40_2
; %bb.10:                               ;   in Loop: Header=BB40_3 Depth=1
	s_wait_dscnt 0x0
	global_store_b32 v[4:5], v3, off offset:64
	s_branch .LBB40_2
.LBB40_11:
	s_endpgm
	.section	.rodata,"a",@progbits
	.p2align	6, 0x0
	.amdhsa_kernel batched_transpose_16x64_pack_1x4_ediv_1x2_half
		.amdhsa_group_segment_fixed_size 2176
		.amdhsa_private_segment_fixed_size 0
		.amdhsa_kernarg_size 48
		.amdhsa_user_sgpr_count 2
		.amdhsa_user_sgpr_dispatch_ptr 0
		.amdhsa_user_sgpr_queue_ptr 0
		.amdhsa_user_sgpr_kernarg_segment_ptr 1
		.amdhsa_user_sgpr_dispatch_id 0
		.amdhsa_user_sgpr_kernarg_preload_length 0
		.amdhsa_user_sgpr_kernarg_preload_offset 0
		.amdhsa_user_sgpr_private_segment_size 0
		.amdhsa_wavefront_size32 1
		.amdhsa_uses_dynamic_stack 0
		.amdhsa_enable_private_segment 0
		.amdhsa_system_sgpr_workgroup_id_x 1
		.amdhsa_system_sgpr_workgroup_id_y 0
		.amdhsa_system_sgpr_workgroup_id_z 0
		.amdhsa_system_sgpr_workgroup_info 0
		.amdhsa_system_vgpr_workitem_id 0
		.amdhsa_next_free_vgpr 19
		.amdhsa_next_free_sgpr 32
		.amdhsa_named_barrier_count 0
		.amdhsa_reserve_vcc 1
		.amdhsa_float_round_mode_32 0
		.amdhsa_float_round_mode_16_64 0
		.amdhsa_float_denorm_mode_32 3
		.amdhsa_float_denorm_mode_16_64 3
		.amdhsa_fp16_overflow 0
		.amdhsa_memory_ordered 1
		.amdhsa_forward_progress 1
		.amdhsa_inst_pref_size 6
		.amdhsa_round_robin_scheduling 0
		.amdhsa_exception_fp_ieee_invalid_op 0
		.amdhsa_exception_fp_denorm_src 0
		.amdhsa_exception_fp_ieee_div_zero 0
		.amdhsa_exception_fp_ieee_overflow 0
		.amdhsa_exception_fp_ieee_underflow 0
		.amdhsa_exception_fp_ieee_inexact 0
		.amdhsa_exception_int_div_zero 0
	.end_amdhsa_kernel
	.text
.Lfunc_end40:
	.size	batched_transpose_16x64_pack_1x4_ediv_1x2_half, .Lfunc_end40-batched_transpose_16x64_pack_1x4_ediv_1x2_half
                                        ; -- End function
	.set batched_transpose_16x64_pack_1x4_ediv_1x2_half.num_vgpr, 19
	.set batched_transpose_16x64_pack_1x4_ediv_1x2_half.num_agpr, 0
	.set batched_transpose_16x64_pack_1x4_ediv_1x2_half.numbered_sgpr, 32
	.set batched_transpose_16x64_pack_1x4_ediv_1x2_half.num_named_barrier, 0
	.set batched_transpose_16x64_pack_1x4_ediv_1x2_half.private_seg_size, 0
	.set batched_transpose_16x64_pack_1x4_ediv_1x2_half.uses_vcc, 1
	.set batched_transpose_16x64_pack_1x4_ediv_1x2_half.uses_flat_scratch, 0
	.set batched_transpose_16x64_pack_1x4_ediv_1x2_half.has_dyn_sized_stack, 0
	.set batched_transpose_16x64_pack_1x4_ediv_1x2_half.has_recursion, 0
	.set batched_transpose_16x64_pack_1x4_ediv_1x2_half.has_indirect_call, 0
	.section	.AMDGPU.csdata,"",@progbits
; Kernel info:
; codeLenInByte = 756
; TotalNumSgprs: 34
; NumVgprs: 19
; ScratchSize: 0
; MemoryBound: 0
; FloatMode: 240
; IeeeMode: 1
; LDSByteSize: 2176 bytes/workgroup (compile time only)
; SGPRBlocks: 0
; VGPRBlocks: 1
; NumSGPRsForWavesPerEU: 34
; NumVGPRsForWavesPerEU: 19
; NamedBarCnt: 0
; Occupancy: 16
; WaveLimiterHint : 0
; COMPUTE_PGM_RSRC2:SCRATCH_EN: 0
; COMPUTE_PGM_RSRC2:USER_SGPR: 2
; COMPUTE_PGM_RSRC2:TRAP_HANDLER: 0
; COMPUTE_PGM_RSRC2:TGID_X_EN: 1
; COMPUTE_PGM_RSRC2:TGID_Y_EN: 0
; COMPUTE_PGM_RSRC2:TGID_Z_EN: 0
; COMPUTE_PGM_RSRC2:TIDIG_COMP_CNT: 0
	.text
	.protected	batched_transpose_64x16_pack_4x1_ediv_2x1_half ; -- Begin function batched_transpose_64x16_pack_4x1_ediv_2x1_half
	.globl	batched_transpose_64x16_pack_4x1_ediv_2x1_half
	.p2align	8
	.type	batched_transpose_64x16_pack_4x1_ediv_2x1_half,@function
batched_transpose_64x16_pack_4x1_ediv_2x1_half: ; @batched_transpose_64x16_pack_4x1_ediv_2x1_half
; %bb.0:
	s_load_b256 s[4:11], s[0:1], 0x10
	s_bfe_u32 s2, ttmp6, 0x4000c
	s_and_b32 s3, ttmp6, 15
	s_add_co_i32 s2, s2, 1
	s_getreg_b32 s12, hwreg(HW_REG_IB_STS2, 6, 4)
	s_mul_i32 s2, ttmp9, s2
	s_delay_alu instid0(SALU_CYCLE_1)
	s_add_co_i32 s3, s3, s2
	s_cmp_eq_u32 s12, 0
	s_cselect_b32 s2, ttmp9, s3
	s_mov_b32 s3, 0
	s_wait_kmcnt 0x0
	s_cmp_ge_u32 s2, s7
	s_cbranch_scc1 .LBB41_11
; %bb.1:
	s_load_b128 s[12:15], s[0:1], 0x0
	v_dual_lshrrev_b32 v6, 4, v0 :: v_dual_bitop2_b32 v7, 15, v0 bitop3:0x40
	s_wait_xcnt 0x0
	s_add_co_i32 s0, s4, 15
	s_mov_b32 s16, s10
	s_lshr_b32 s28, s0, 4
	v_dual_lshlrev_b32 v0, 2, v6 :: v_dual_lshlrev_b32 v1, 2, v7
	s_add_co_i32 s0, s5, 63
	v_lshl_or_b32 v11, s2, 5, v7
	s_and_b32 s10, s0, 0xffffffc0
	s_delay_alu instid0(VALU_DEP_2)
	v_mad_u32_u24 v8, 0x44, v7, v0
	v_lshlrev_b32_e32 v0, 1, v6
	s_lshr_b32 s0, s0, 1
	v_mad_u32_u24 v9, 0x44, v6, v1
	v_mov_b32_e32 v1, 0
	s_and_b32 s0, s0, 0x7fffffe0
	v_lshl_or_b32 v10, s2, 6, v0
	s_lshr_b32 s1, s5, 1
	s_mov_b32 s17, s3
	s_mov_b32 s18, s8
	;; [unrolled: 1-line block ×6, first 2 shown]
	s_lshl_b32 s22, s4, 5
	s_mov_b32 s23, s3
	s_mul_i32 s24, s4, 33
	s_mov_b32 s25, s3
	s_sub_co_i32 s10, 0, s10
	s_lshl_b32 s29, s6, 6
	s_sub_co_i32 s30, 0, s0
	s_lshl_b32 s31, s6, 5
                                        ; implicit-def: $vgpr12
                                        ; implicit-def: $vgpr13
	s_branch .LBB41_3
.LBB41_2:                               ;   in Loop: Header=BB41_3 Depth=1
	s_wait_xcnt 0x0
	s_or_b32 exec_lo, exec_lo, s0
	v_dual_add_nc_u32 v10, s29, v10 :: v_dual_add_nc_u32 v11, s31, v11
	s_add_co_i32 s2, s2, s6
	s_delay_alu instid0(SALU_CYCLE_1)
	s_cmp_lt_u32 s2, s7
	s_cbranch_scc0 .LBB41_11
.LBB41_3:                               ; =>This Inner Loop Header: Depth=1
	s_mul_u64 s[26:27], s[16:17], s[2:3]
	s_delay_alu instid0(SALU_CYCLE_1)
	s_add_co_i32 s0, s2, s27
	s_mov_b32 s27, s3
	s_lshr_b32 s26, s0, s11
	s_barrier_signal -1
	s_mul_u64 s[34:35], s[26:27], s[18:19]
	v_mad_u32 v2, s30, s26, v11
	s_add_co_i32 s0, s26, s35
	s_barrier_wait -1
	s_lshr_b32 s27, s0, s9
	s_delay_alu instid0(SALU_CYCLE_1) | instskip(SKIP_2) | instid1(SALU_CYCLE_1)
	s_mul_i32 s0, s27, s28
	v_mov_b32_e32 v3, v1
	s_sub_co_i32 s0, s26, s0
	s_lshl_b32 s33, s0, 4
	s_delay_alu instid0(SALU_CYCLE_1) | instskip(NEXT) | instid1(VALU_DEP_3)
	v_or_b32_e32 v0, s33, v6
	v_cmp_gt_u32_e64 s0, s1, v2
	s_wait_dscnt 0x0
	s_delay_alu instid0(VALU_DEP_2) | instskip(SKIP_2) | instid1(VALU_DEP_2)
	v_mad_nc_u64_u32 v[4:5], s27, s20, v[0:1]
	v_cmp_gt_u32_e32 vcc_lo, s4, v0
	s_and_b32 s34, vcc_lo, s0
	v_mad_nc_u64_u32 v[14:15], v4, s1, v[2:3]
	s_delay_alu instid0(VALU_DEP_1) | instskip(SKIP_1) | instid1(VALU_DEP_1)
	v_mad_u32 v15, v5, s1, v15
	s_wait_kmcnt 0x0
	v_lshl_add_u64 v[4:5], v[14:15], 2, s[14:15]
	s_and_saveexec_b32 s0, s34
	s_cbranch_execz .LBB41_5
; %bb.4:                                ;   in Loop: Header=BB41_3 Depth=1
	global_load_b32 v13, v[4:5], off
.LBB41_5:                               ;   in Loop: Header=BB41_3 Depth=1
	s_wait_xcnt 0x0
	s_or_b32 exec_lo, exec_lo, s0
	v_add_nc_u32_e32 v0, 16, v2
	s_delay_alu instid0(VALU_DEP_1) | instskip(SKIP_1) | instid1(SALU_CYCLE_1)
	v_cmp_gt_u32_e64 s0, s1, v0
	s_and_b32 s34, vcc_lo, s0
	s_and_saveexec_b32 s0, s34
	s_cbranch_execz .LBB41_7
; %bb.6:                                ;   in Loop: Header=BB41_3 Depth=1
	global_load_b32 v12, v[4:5], off offset:64
.LBB41_7:                               ;   in Loop: Header=BB41_3 Depth=1
	s_wait_xcnt 0x0
	s_or_b32 exec_lo, exec_lo, s0
	v_mad_u32 v0, s10, s26, v10
	v_dual_mov_b32 v15, v1 :: v_dual_bitop2_b32 v14, s33, v7 bitop3:0x54
	s_wait_loadcnt 0x0
	ds_store_b32 v8, v13
	ds_store_b32 v8, v12 offset:1088
	s_wait_dscnt 0x0
	s_barrier_signal -1
	s_barrier_wait -1
	ds_load_b32 v4, v9 offset:1088
	v_cmp_gt_u32_e32 vcc_lo, s4, v14
	v_mad_nc_u64_u32 v[2:3], s27, s8, v[0:1]
	v_cmp_gt_u32_e64 s0, s5, v0
	s_and_b32 s26, vcc_lo, s0
	v_mad_nc_u64_u32 v[16:17], v2, s20, v[14:15]
	s_delay_alu instid0(VALU_DEP_1) | instskip(NEXT) | instid1(VALU_DEP_1)
	v_mad_u32 v17, v3, s20, v17
	v_lshl_add_u64 v[2:3], v[16:17], 1, s[12:13]
	s_and_saveexec_b32 s0, s26
	s_cbranch_execz .LBB41_9
; %bb.8:                                ;   in Loop: Header=BB41_3 Depth=1
	ds_load_b32 v5, v9
	v_lshl_add_u64 v[14:15], s[20:21], 1, v[2:3]
	s_wait_dscnt 0x0
	s_clause 0x1
	global_store_b16 v[2:3], v5, off
	global_store_d16_hi_b16 v[14:15], v5, off
.LBB41_9:                               ;   in Loop: Header=BB41_3 Depth=1
	s_wait_xcnt 0x0
	s_or_b32 exec_lo, exec_lo, s0
	v_add_nc_u32_e32 v0, 32, v0
	s_delay_alu instid0(VALU_DEP_1) | instskip(SKIP_1) | instid1(SALU_CYCLE_1)
	v_cmp_gt_u32_e64 s0, s5, v0
	s_and_b32 s26, vcc_lo, s0
	s_and_saveexec_b32 s0, s26
	s_cbranch_execz .LBB41_2
; %bb.10:                               ;   in Loop: Header=BB41_3 Depth=1
	v_lshl_add_u64 v[14:15], s[22:23], 1, v[2:3]
	v_lshl_add_u64 v[2:3], s[24:25], 1, v[2:3]
	s_wait_dscnt 0x0
	s_clause 0x1
	global_store_b16 v[14:15], v4, off
	global_store_d16_hi_b16 v[2:3], v4, off
	s_branch .LBB41_2
.LBB41_11:
	s_endpgm
	.section	.rodata,"a",@progbits
	.p2align	6, 0x0
	.amdhsa_kernel batched_transpose_64x16_pack_4x1_ediv_2x1_half
		.amdhsa_group_segment_fixed_size 2176
		.amdhsa_private_segment_fixed_size 0
		.amdhsa_kernarg_size 48
		.amdhsa_user_sgpr_count 2
		.amdhsa_user_sgpr_dispatch_ptr 0
		.amdhsa_user_sgpr_queue_ptr 0
		.amdhsa_user_sgpr_kernarg_segment_ptr 1
		.amdhsa_user_sgpr_dispatch_id 0
		.amdhsa_user_sgpr_kernarg_preload_length 0
		.amdhsa_user_sgpr_kernarg_preload_offset 0
		.amdhsa_user_sgpr_private_segment_size 0
		.amdhsa_wavefront_size32 1
		.amdhsa_uses_dynamic_stack 0
		.amdhsa_enable_private_segment 0
		.amdhsa_system_sgpr_workgroup_id_x 1
		.amdhsa_system_sgpr_workgroup_id_y 0
		.amdhsa_system_sgpr_workgroup_id_z 0
		.amdhsa_system_sgpr_workgroup_info 0
		.amdhsa_system_vgpr_workitem_id 0
		.amdhsa_next_free_vgpr 18
		.amdhsa_next_free_sgpr 36
		.amdhsa_named_barrier_count 0
		.amdhsa_reserve_vcc 1
		.amdhsa_float_round_mode_32 0
		.amdhsa_float_round_mode_16_64 0
		.amdhsa_float_denorm_mode_32 3
		.amdhsa_float_denorm_mode_16_64 3
		.amdhsa_fp16_overflow 0
		.amdhsa_memory_ordered 1
		.amdhsa_forward_progress 1
		.amdhsa_inst_pref_size 6
		.amdhsa_round_robin_scheduling 0
		.amdhsa_exception_fp_ieee_invalid_op 0
		.amdhsa_exception_fp_denorm_src 0
		.amdhsa_exception_fp_ieee_div_zero 0
		.amdhsa_exception_fp_ieee_overflow 0
		.amdhsa_exception_fp_ieee_underflow 0
		.amdhsa_exception_fp_ieee_inexact 0
		.amdhsa_exception_int_div_zero 0
	.end_amdhsa_kernel
	.text
.Lfunc_end41:
	.size	batched_transpose_64x16_pack_4x1_ediv_2x1_half, .Lfunc_end41-batched_transpose_64x16_pack_4x1_ediv_2x1_half
                                        ; -- End function
	.set batched_transpose_64x16_pack_4x1_ediv_2x1_half.num_vgpr, 18
	.set batched_transpose_64x16_pack_4x1_ediv_2x1_half.num_agpr, 0
	.set batched_transpose_64x16_pack_4x1_ediv_2x1_half.numbered_sgpr, 36
	.set batched_transpose_64x16_pack_4x1_ediv_2x1_half.num_named_barrier, 0
	.set batched_transpose_64x16_pack_4x1_ediv_2x1_half.private_seg_size, 0
	.set batched_transpose_64x16_pack_4x1_ediv_2x1_half.uses_vcc, 1
	.set batched_transpose_64x16_pack_4x1_ediv_2x1_half.uses_flat_scratch, 0
	.set batched_transpose_64x16_pack_4x1_ediv_2x1_half.has_dyn_sized_stack, 0
	.set batched_transpose_64x16_pack_4x1_ediv_2x1_half.has_recursion, 0
	.set batched_transpose_64x16_pack_4x1_ediv_2x1_half.has_indirect_call, 0
	.section	.AMDGPU.csdata,"",@progbits
; Kernel info:
; codeLenInByte = 764
; TotalNumSgprs: 38
; NumVgprs: 18
; ScratchSize: 0
; MemoryBound: 0
; FloatMode: 240
; IeeeMode: 1
; LDSByteSize: 2176 bytes/workgroup (compile time only)
; SGPRBlocks: 0
; VGPRBlocks: 1
; NumSGPRsForWavesPerEU: 38
; NumVGPRsForWavesPerEU: 18
; NamedBarCnt: 0
; Occupancy: 16
; WaveLimiterHint : 0
; COMPUTE_PGM_RSRC2:SCRATCH_EN: 0
; COMPUTE_PGM_RSRC2:USER_SGPR: 2
; COMPUTE_PGM_RSRC2:TRAP_HANDLER: 0
; COMPUTE_PGM_RSRC2:TGID_X_EN: 1
; COMPUTE_PGM_RSRC2:TGID_Y_EN: 0
; COMPUTE_PGM_RSRC2:TGID_Z_EN: 0
; COMPUTE_PGM_RSRC2:TIDIG_COMP_CNT: 0
	.text
	.protected	batched_transpose_64x64_pack_4x4_ediv_4x4_half ; -- Begin function batched_transpose_64x64_pack_4x4_ediv_4x4_half
	.globl	batched_transpose_64x64_pack_4x4_ediv_4x4_half
	.p2align	8
	.type	batched_transpose_64x64_pack_4x4_ediv_4x4_half,@function
batched_transpose_64x64_pack_4x4_ediv_4x4_half: ; @batched_transpose_64x64_pack_4x4_ediv_4x4_half
; %bb.0:
	s_load_b256 s[4:11], s[0:1], 0x10
	s_bfe_u32 s2, ttmp6, 0x4000c
	s_and_b32 s3, ttmp6, 15
	s_add_co_i32 s2, s2, 1
	s_getreg_b32 s12, hwreg(HW_REG_IB_STS2, 6, 4)
	s_mul_i32 s2, ttmp9, s2
	s_delay_alu instid0(SALU_CYCLE_1)
	s_add_co_i32 s3, s3, s2
	s_cmp_eq_u32 s12, 0
	s_cselect_b32 s2, ttmp9, s3
	s_mov_b32 s3, 0
	s_wait_kmcnt 0x0
	s_cmp_ge_u32 s2, s7
	s_cbranch_scc1 .LBB42_7
; %bb.1:
	s_load_b128 s[12:15], s[0:1], 0x0
	v_dual_lshrrev_b32 v1, 4, v0 :: v_dual_bitop2_b32 v12, 15, v0 bitop3:0x40
	s_wait_xcnt 0x0
	s_add_co_i32 s0, s4, 63
	v_and_b32_e32 v0, 0xf0, v0
	s_lshr_b32 s1, s0, 6
	v_dual_lshlrev_b32 v13, 2, v1 :: v_dual_lshlrev_b32 v2, 4, v12
	s_add_co_i32 s0, s5, 63
	s_mov_b32 s20, s10
	s_and_b32 s10, s0, 0xffffffc0
	s_lshr_b32 s0, s0, 2
	v_mad_u32_u24 v14, 0x110, v12, v0
	v_mad_u32_u24 v15, 0x110, v1, v2
	v_lshl_or_b32 v16, s2, 6, v13
	v_lshl_or_b32 v17, s2, 4, v12
	v_mov_b32_e32 v1, 0
	s_lshr_b32 s16, s4, 2
	s_lshr_b32 s18, s5, 2
	s_and_b32 s0, s0, 0x3ffffff0
	s_mov_b32 s21, s3
	s_mov_b32 s22, s8
	;; [unrolled: 1-line block ×4, first 2 shown]
	s_lshl_b32 s24, s18, 1
	s_mov_b32 s25, s3
	s_mul_i32 s26, s18, 3
	s_mov_b32 s27, s3
	s_mov_b32 s8, s5
	;; [unrolled: 1-line block ×3, first 2 shown]
	s_lshl_b32 s28, s16, 1
	s_mov_b32 s29, s3
	s_mul_i32 s30, s16, 3
	s_mov_b32 s31, s3
	s_sub_co_i32 s10, 0, s10
	s_lshl_b32 s33, s6, 6
	s_sub_co_i32 s36, 0, s0
	s_lshl_b32 s37, s6, 4
                                        ; implicit-def: $vgpr2_vgpr3
                                        ; implicit-def: $vgpr4_vgpr5
                                        ; implicit-def: $vgpr6_vgpr7
                                        ; implicit-def: $vgpr8_vgpr9
	s_branch .LBB42_3
.LBB42_2:                               ;   in Loop: Header=BB42_3 Depth=1
	s_wait_xcnt 0x0
	s_or_b32 exec_lo, exec_lo, s0
	v_dual_add_nc_u32 v16, s33, v16 :: v_dual_add_nc_u32 v17, s37, v17
	s_add_co_i32 s2, s2, s6
	s_delay_alu instid0(SALU_CYCLE_1)
	s_cmp_lt_u32 s2, s7
	s_cbranch_scc0 .LBB42_7
.LBB42_3:                               ; =>This Inner Loop Header: Depth=1
	s_mul_u64 s[34:35], s[20:21], s[2:3]
	s_delay_alu instid0(SALU_CYCLE_1)
	s_add_co_i32 s0, s2, s35
	s_mov_b32 s35, s3
	s_lshr_b32 s34, s0, s11
	s_barrier_signal -1
	s_mul_u64 s[38:39], s[34:35], s[22:23]
	s_barrier_wait -1
	s_add_co_i32 s0, s34, s39
	s_delay_alu instid0(SALU_CYCLE_1) | instskip(NEXT) | instid1(SALU_CYCLE_1)
	s_lshr_b32 s35, s0, s9
	s_mul_i32 s0, s35, s1
	s_delay_alu instid0(SALU_CYCLE_1) | instskip(SKIP_3) | instid1(VALU_DEP_2)
	s_sub_co_i32 s38, s34, s0
	s_mul_i32 s0, s36, s34
	v_lshl_or_b32 v0, s38, 6, v13
	v_add_nc_u32_e32 v10, s0, v17
	v_cmp_gt_u32_e32 vcc_lo, s4, v0
	s_delay_alu instid0(VALU_DEP_2) | instskip(SKIP_1) | instid1(SALU_CYCLE_1)
	v_cmp_gt_u32_e64 s0, s18, v10
	s_and_b32 s39, vcc_lo, s0
	s_and_saveexec_b32 s0, s39
	s_cbranch_execz .LBB42_5
; %bb.4:                                ;   in Loop: Header=BB42_3 Depth=1
	v_mad_nc_u64_u32 v[2:3], s35, s4, v[0:1]
	v_mov_b32_e32 v11, v1
	s_delay_alu instid0(VALU_DEP_2) | instskip(SKIP_1) | instid1(VALU_DEP_1)
	v_mul_u64_e32 v[2:3], s[18:19], v[2:3]
	s_wait_kmcnt 0x0
	v_lshl_add_u64 v[2:3], v[2:3], 3, s[14:15]
	s_delay_alu instid0(VALU_DEP_1) | instskip(NEXT) | instid1(VALU_DEP_1)
	v_lshl_add_u64 v[10:11], v[10:11], 3, v[2:3]
	v_lshl_add_u64 v[18:19], s[18:19], 3, v[10:11]
	;; [unrolled: 1-line block ×4, first 2 shown]
	s_clause 0x3
	global_load_b64 v[4:5], v[10:11], off
	global_load_b64 v[2:3], v[18:19], off
	;; [unrolled: 1-line block ×4, first 2 shown]
.LBB42_5:                               ;   in Loop: Header=BB42_3 Depth=1
	s_wait_xcnt 0x0
	s_or_b32 exec_lo, exec_lo, s0
	s_wait_loadcnt 0x1
	v_and_b32_e32 v0, 0xffff, v8
	s_wait_loadcnt 0x0
	v_dual_lshlrev_b32 v11, 16, v6 :: v_dual_lshrrev_b32 v20, 16, v8
	v_and_b32_e32 v10, 0xffff, v4
	v_dual_lshlrev_b32 v18, 16, v2 :: v_dual_lshrrev_b32 v22, 16, v4
	v_and_b32_e32 v21, 0xffff0000, v6
	v_and_b32_e32 v23, 0xffff0000, v2
	v_or_b32_e32 v19, v11, v0
	v_mad_u32 v0, s10, s34, v16
	v_dual_lshlrev_b32 v24, 16, v3 :: v_dual_bitop2_b32 v18, v18, v10 bitop3:0x54
	v_dual_lshrrev_b32 v25, 16, v9 :: v_dual_bitop2_b32 v21, v21, v20 bitop3:0x54
	v_dual_lshrrev_b32 v26, 16, v5 :: v_dual_bitop2_b32 v20, v23, v22 bitop3:0x54
	v_and_b32_e32 v10, 0xffff, v9
	v_lshlrev_b32_e32 v22, 16, v7
	v_and_b32_e32 v11, 0xffff, v5
	v_and_b32_e32 v27, 0xffff0000, v7
	;; [unrolled: 1-line block ×3, first 2 shown]
	v_cmp_gt_u32_e64 s0, s5, v0
	v_or_b32_e32 v23, v22, v10
	v_lshl_or_b32 v10, s38, 4, v12
	v_or_b32_e32 v22, v24, v11
	v_or_b32_e32 v25, v27, v25
	;; [unrolled: 1-line block ×3, first 2 shown]
	ds_store_b128 v14, v[18:21]
	ds_store_b128 v14, v[22:25] offset:4352
	v_cmp_gt_u32_e32 vcc_lo, s16, v10
	s_wait_dscnt 0x0
	s_barrier_signal -1
	s_barrier_wait -1
	s_and_b32 s34, s0, vcc_lo
	s_delay_alu instid0(SALU_CYCLE_1)
	s_and_saveexec_b32 s0, s34
	s_cbranch_execz .LBB42_2
; %bb.6:                                ;   in Loop: Header=BB42_3 Depth=1
	v_mad_nc_u64_u32 v[18:19], s35, s8, v[0:1]
	v_mov_b32_e32 v11, v1
	s_delay_alu instid0(VALU_DEP_2) | instskip(SKIP_4) | instid1(VALU_DEP_1)
	v_mul_u64_e32 v[26:27], s[16:17], v[18:19]
	ds_load_b128 v[18:21], v15
	ds_load_b128 v[22:25], v15 offset:4352
	s_wait_kmcnt 0x0
	v_lshl_add_u64 v[26:27], v[26:27], 3, s[12:13]
	v_lshl_add_u64 v[10:11], v[10:11], 3, v[26:27]
	s_delay_alu instid0(VALU_DEP_1)
	v_lshl_add_u64 v[26:27], s[16:17], 3, v[10:11]
	v_lshl_add_u64 v[28:29], s[28:29], 3, v[10:11]
	;; [unrolled: 1-line block ×3, first 2 shown]
	s_wait_dscnt 0x1
	s_clause 0x1
	global_store_b64 v[10:11], v[18:19], off
	global_store_b64 v[26:27], v[20:21], off
	s_wait_dscnt 0x0
	s_clause 0x1
	global_store_b64 v[28:29], v[22:23], off
	global_store_b64 v[30:31], v[24:25], off
	s_branch .LBB42_2
.LBB42_7:
	s_endpgm
	.section	.rodata,"a",@progbits
	.p2align	6, 0x0
	.amdhsa_kernel batched_transpose_64x64_pack_4x4_ediv_4x4_half
		.amdhsa_group_segment_fixed_size 8704
		.amdhsa_private_segment_fixed_size 0
		.amdhsa_kernarg_size 48
		.amdhsa_user_sgpr_count 2
		.amdhsa_user_sgpr_dispatch_ptr 0
		.amdhsa_user_sgpr_queue_ptr 0
		.amdhsa_user_sgpr_kernarg_segment_ptr 1
		.amdhsa_user_sgpr_dispatch_id 0
		.amdhsa_user_sgpr_kernarg_preload_length 0
		.amdhsa_user_sgpr_kernarg_preload_offset 0
		.amdhsa_user_sgpr_private_segment_size 0
		.amdhsa_wavefront_size32 1
		.amdhsa_uses_dynamic_stack 0
		.amdhsa_enable_private_segment 0
		.amdhsa_system_sgpr_workgroup_id_x 1
		.amdhsa_system_sgpr_workgroup_id_y 0
		.amdhsa_system_sgpr_workgroup_id_z 0
		.amdhsa_system_sgpr_workgroup_info 0
		.amdhsa_system_vgpr_workitem_id 0
		.amdhsa_next_free_vgpr 32
		.amdhsa_next_free_sgpr 40
		.amdhsa_named_barrier_count 0
		.amdhsa_reserve_vcc 1
		.amdhsa_float_round_mode_32 0
		.amdhsa_float_round_mode_16_64 0
		.amdhsa_float_denorm_mode_32 3
		.amdhsa_float_denorm_mode_16_64 3
		.amdhsa_fp16_overflow 0
		.amdhsa_memory_ordered 1
		.amdhsa_forward_progress 1
		.amdhsa_inst_pref_size 8
		.amdhsa_round_robin_scheduling 0
		.amdhsa_exception_fp_ieee_invalid_op 0
		.amdhsa_exception_fp_denorm_src 0
		.amdhsa_exception_fp_ieee_div_zero 0
		.amdhsa_exception_fp_ieee_overflow 0
		.amdhsa_exception_fp_ieee_underflow 0
		.amdhsa_exception_fp_ieee_inexact 0
		.amdhsa_exception_int_div_zero 0
	.end_amdhsa_kernel
	.text
.Lfunc_end42:
	.size	batched_transpose_64x64_pack_4x4_ediv_4x4_half, .Lfunc_end42-batched_transpose_64x64_pack_4x4_ediv_4x4_half
                                        ; -- End function
	.set batched_transpose_64x64_pack_4x4_ediv_4x4_half.num_vgpr, 32
	.set batched_transpose_64x64_pack_4x4_ediv_4x4_half.num_agpr, 0
	.set batched_transpose_64x64_pack_4x4_ediv_4x4_half.numbered_sgpr, 40
	.set batched_transpose_64x64_pack_4x4_ediv_4x4_half.num_named_barrier, 0
	.set batched_transpose_64x64_pack_4x4_ediv_4x4_half.private_seg_size, 0
	.set batched_transpose_64x64_pack_4x4_ediv_4x4_half.uses_vcc, 1
	.set batched_transpose_64x64_pack_4x4_ediv_4x4_half.uses_flat_scratch, 0
	.set batched_transpose_64x64_pack_4x4_ediv_4x4_half.has_dyn_sized_stack, 0
	.set batched_transpose_64x64_pack_4x4_ediv_4x4_half.has_recursion, 0
	.set batched_transpose_64x64_pack_4x4_ediv_4x4_half.has_indirect_call, 0
	.section	.AMDGPU.csdata,"",@progbits
; Kernel info:
; codeLenInByte = 920
; TotalNumSgprs: 42
; NumVgprs: 32
; ScratchSize: 0
; MemoryBound: 0
; FloatMode: 240
; IeeeMode: 1
; LDSByteSize: 8704 bytes/workgroup (compile time only)
; SGPRBlocks: 0
; VGPRBlocks: 1
; NumSGPRsForWavesPerEU: 42
; NumVGPRsForWavesPerEU: 32
; NamedBarCnt: 0
; Occupancy: 16
; WaveLimiterHint : 0
; COMPUTE_PGM_RSRC2:SCRATCH_EN: 0
; COMPUTE_PGM_RSRC2:USER_SGPR: 2
; COMPUTE_PGM_RSRC2:TRAP_HANDLER: 0
; COMPUTE_PGM_RSRC2:TGID_X_EN: 1
; COMPUTE_PGM_RSRC2:TGID_Y_EN: 0
; COMPUTE_PGM_RSRC2:TGID_Z_EN: 0
; COMPUTE_PGM_RSRC2:TIDIG_COMP_CNT: 0
	.text
	.protected	batched_transpose_64x64_pack_4x4_ediv_2x2_half ; -- Begin function batched_transpose_64x64_pack_4x4_ediv_2x2_half
	.globl	batched_transpose_64x64_pack_4x4_ediv_2x2_half
	.p2align	8
	.type	batched_transpose_64x64_pack_4x4_ediv_2x2_half,@function
batched_transpose_64x64_pack_4x4_ediv_2x2_half: ; @batched_transpose_64x64_pack_4x4_ediv_2x2_half
; %bb.0:
	s_load_b256 s[4:11], s[0:1], 0x10
	s_bfe_u32 s2, ttmp6, 0x4000c
	s_and_b32 s3, ttmp6, 15
	s_add_co_i32 s2, s2, 1
	s_getreg_b32 s12, hwreg(HW_REG_IB_STS2, 6, 4)
	s_mul_i32 s2, ttmp9, s2
	s_delay_alu instid0(SALU_CYCLE_1)
	s_add_co_i32 s3, s3, s2
	s_cmp_eq_u32 s12, 0
	s_cselect_b32 s2, ttmp9, s3
	s_mov_b32 s3, 0
	s_wait_kmcnt 0x0
	s_cmp_ge_u32 s2, s7
	s_cbranch_scc1 .LBB43_19
; %bb.1:
	v_dual_lshrrev_b32 v1, 4, v0 :: v_dual_bitop2_b32 v22, 15, v0 bitop3:0x40
	s_load_b128 s[12:15], s[0:1], 0x0
	v_and_b32_e32 v0, 0xf0, v0
	s_wait_xcnt 0x0
	s_add_co_i32 s0, s4, 63
	v_dual_lshlrev_b32 v23, 1, v1 :: v_dual_lshlrev_b32 v2, 4, v22
	s_lshr_b32 s33, s0, 6
	v_mad_u32_u24 v24, 0x110, v22, v0
	s_add_co_i32 s0, s5, 63
	s_delay_alu instid0(VALU_DEP_2)
	v_lshl_or_b32 v26, s2, 6, v23
	v_mad_u32_u24 v25, 0x110, v1, v2
	v_mov_b32_e32 v1, 0
	s_and_b32 s1, s0, 0xffffffc0
	s_lshr_b32 s0, s0, 1
	v_lshl_or_b32 v27, s2, 5, v22
	s_lshr_b32 s16, s4, 1
	v_dual_mov_b32 v5, v1 :: v_dual_mov_b32 v6, v1
	v_dual_mov_b32 v7, v1 :: v_dual_mov_b32 v0, v1
	;; [unrolled: 1-line block ×3, first 2 shown]
	v_mov_b32_e32 v4, v1
	s_delay_alu instid0(VALU_DEP_3) | instskip(NEXT) | instid1(VALU_DEP_2)
	v_mov_b64_e32 v[8:9], v[6:7]
	v_mov_b64_e32 v[6:7], v[4:5]
	s_delay_alu instid0(VALU_DEP_4)
	v_mov_b64_e32 v[4:5], v[2:3]
	v_mov_b64_e32 v[2:3], v[0:1]
	s_lshr_b32 s18, s5, 1
	s_and_b32 s0, s0, 0x7fffffe0
	s_mov_b32 s20, s10
	s_mov_b32 s21, s3
	;; [unrolled: 1-line block ×5, first 2 shown]
	s_lshl_b32 s24, s18, 5
	s_mov_b32 s25, s3
	s_mul_i32 s26, s18, 33
	s_mov_b32 s27, s3
	s_mov_b32 s8, s5
	;; [unrolled: 1-line block ×3, first 2 shown]
	s_lshl_b32 s28, s16, 5
	s_mov_b32 s29, s3
	s_mul_i32 s30, s16, 33
	s_mov_b32 s31, s3
	s_sub_co_i32 s10, 0, s1
	s_lshl_b32 s36, s6, 6
	s_sub_co_i32 s37, 0, s0
	s_lshl_b32 s38, s6, 5
	s_branch .LBB43_3
.LBB43_2:                               ;   in Loop: Header=BB43_3 Depth=1
	s_wait_xcnt 0x0
	s_or_b32 exec_lo, exec_lo, s0
	v_dual_add_nc_u32 v26, s36, v26 :: v_dual_add_nc_u32 v27, s38, v27
	s_add_co_i32 s2, s2, s6
	s_delay_alu instid0(SALU_CYCLE_1)
	s_cmp_lt_u32 s2, s7
	s_cbranch_scc0 .LBB43_19
.LBB43_3:                               ; =>This Inner Loop Header: Depth=1
	s_mul_u64 s[0:1], s[20:21], s[2:3]
	s_mov_b32 s35, s3
	s_add_co_i32 s0, s2, s1
	s_wait_dscnt 0x0
	v_mov_b32_e32 v13, v1
	s_lshr_b32 s34, s0, s11
	s_delay_alu instid0(SALU_CYCLE_1)
	s_mul_u64 s[0:1], s[34:35], s[22:23]
	v_mad_u32 v12, s37, s34, v27
	s_add_co_i32 s0, s34, s1
	s_barrier_signal -1
	s_lshr_b32 s39, s0, s9
	s_barrier_wait -1
	s_mul_i32 s0, s39, s33
	s_delay_alu instid0(SALU_CYCLE_1) | instskip(NEXT) | instid1(SALU_CYCLE_1)
	s_sub_co_i32 s35, s34, s0
	v_lshl_or_b32 v0, s35, 6, v23
	s_delay_alu instid0(VALU_DEP_2) | instskip(NEXT) | instid1(VALU_DEP_2)
	v_cmp_gt_u32_e32 vcc_lo, s18, v12
	v_mad_nc_u64_u32 v[10:11], s39, s4, v[0:1]
	v_cmp_gt_u32_e64 s1, s4, v0
	s_and_b32 s40, s1, vcc_lo
	v_mad_nc_u64_u32 v[14:15], v10, s18, v[12:13]
	s_delay_alu instid0(VALU_DEP_1) | instskip(SKIP_1) | instid1(VALU_DEP_1)
	v_mad_u32 v15, v11, s18, v15
	s_wait_kmcnt 0x0
	v_lshl_add_u64 v[10:11], v[14:15], 2, s[14:15]
	s_delay_alu instid0(VALU_DEP_1)
	v_lshl_add_u64 v[14:15], s[18:19], 2, v[10:11]
	s_and_saveexec_b32 s0, s40
	s_cbranch_execz .LBB43_5
; %bb.4:                                ;   in Loop: Header=BB43_3 Depth=1
	s_clause 0x1
	global_load_b32 v2, v[10:11], off
	global_load_b32 v4, v[14:15], off
.LBB43_5:                               ;   in Loop: Header=BB43_3 Depth=1
	s_wait_xcnt 0x0
	s_or_b32 exec_lo, exec_lo, s0
	v_add_nc_u32_e32 v12, 16, v12
	s_delay_alu instid0(VALU_DEP_1) | instskip(SKIP_1) | instid1(SALU_CYCLE_1)
	v_cmp_gt_u32_e64 s0, s18, v12
	s_and_b32 s40, s1, s0
	s_and_saveexec_b32 s1, s40
	s_cbranch_execz .LBB43_7
; %bb.6:                                ;   in Loop: Header=BB43_3 Depth=1
	s_clause 0x1
	global_load_b32 v3, v[10:11], off offset:64
	global_load_b32 v5, v[14:15], off offset:64
.LBB43_7:                               ;   in Loop: Header=BB43_3 Depth=1
	s_wait_xcnt 0x0
	s_or_b32 exec_lo, exec_lo, s1
	v_add_nc_u32_e32 v0, 32, v0
	v_lshl_add_u64 v[12:13], s[26:27], 2, v[10:11]
	v_lshl_add_u64 v[10:11], s[24:25], 2, v[10:11]
	s_delay_alu instid0(VALU_DEP_3) | instskip(SKIP_1) | instid1(SALU_CYCLE_1)
	v_cmp_gt_u32_e64 s1, s4, v0
	s_and_b32 s41, s1, vcc_lo
	s_and_saveexec_b32 s40, s41
	s_cbranch_execz .LBB43_9
; %bb.8:                                ;   in Loop: Header=BB43_3 Depth=1
	s_clause 0x1
	global_load_b32 v6, v[10:11], off
	global_load_b32 v8, v[12:13], off
.LBB43_9:                               ;   in Loop: Header=BB43_3 Depth=1
	s_wait_xcnt 0x0
	s_or_b32 exec_lo, exec_lo, s40
	s_and_b32 s1, s1, s0
	s_delay_alu instid0(SALU_CYCLE_1)
	s_and_saveexec_b32 s0, s1
	s_cbranch_execz .LBB43_11
; %bb.10:                               ;   in Loop: Header=BB43_3 Depth=1
	s_clause 0x1
	global_load_b32 v7, v[10:11], off offset:64
	global_load_b32 v9, v[12:13], off offset:64
.LBB43_11:                              ;   in Loop: Header=BB43_3 Depth=1
	s_wait_xcnt 0x0
	s_or_b32 exec_lo, exec_lo, s0
	v_mad_u32 v0, s10, s34, v26
	s_wait_loadcnt 0x1
	v_and_b32_e32 v10, 0xffff, v6
	v_and_b32_e32 v12, 0xffff, v2
	s_wait_loadcnt 0x0
	v_dual_lshlrev_b32 v11, 16, v8 :: v_dual_lshrrev_b32 v14, 16, v6
	v_dual_lshlrev_b32 v13, 16, v4 :: v_dual_lshrrev_b32 v15, 16, v2
	v_and_b32_e32 v16, 0xffff0000, v8
	v_and_b32_e32 v17, 0xffff0000, v4
	s_delay_alu instid0(VALU_DEP_4) | instskip(NEXT) | instid1(VALU_DEP_4)
	v_or_b32_e32 v11, v11, v10
	v_dual_lshlrev_b32 v19, 16, v5 :: v_dual_bitop2_b32 v10, v13, v12 bitop3:0x54
	v_mad_nc_u64_u32 v[20:21], s39, s8, v[0:1]
	v_dual_lshrrev_b32 v28, 16, v7 :: v_dual_bitop2_b32 v13, v16, v14 bitop3:0x54
	v_or_b32_e32 v12, v17, v15
	v_and_b32_e32 v16, 0xffff, v7
	v_and_b32_e32 v18, 0xffff, v3
	v_dual_lshlrev_b32 v17, 16, v9 :: v_dual_lshrrev_b32 v30, 16, v3
	v_mov_b32_e32 v15, v1
	v_and_b32_e32 v29, 0xffff0000, v9
	v_lshl_or_b32 v14, s35, 5, v22
	s_delay_alu instid0(VALU_DEP_4)
	v_or_b32_e32 v17, v17, v16
	v_or_b32_e32 v16, v19, v18
	v_and_b32_e32 v31, 0xffff0000, v5
	v_or_b32_e32 v19, v29, v28
	v_mad_nc_u64_u32 v[28:29], v20, s16, v[14:15]
	v_cmp_gt_u32_e32 vcc_lo, s16, v14
	v_cmp_gt_u32_e64 s1, s5, v0
	v_or_b32_e32 v18, v31, v30
	ds_store_b128 v24, v[10:13]
	ds_store_b128 v24, v[16:19] offset:4352
	s_wait_dscnt 0x0
	s_barrier_signal -1
	s_barrier_wait -1
	v_mad_u32 v29, v21, s16, v29
	ds_load_2addr_b32 v[18:19], v25 offset0:1 offset1:3
	ds_load_b128 v[10:13], v25 offset:4352
	s_and_b32 s34, vcc_lo, s1
	v_lshl_add_u64 v[16:17], v[28:29], 2, s[12:13]
	s_delay_alu instid0(VALU_DEP_1)
	v_lshl_add_u64 v[20:21], s[16:17], 2, v[16:17]
	s_and_saveexec_b32 s0, s34
	s_cbranch_execz .LBB43_13
; %bb.12:                               ;   in Loop: Header=BB43_3 Depth=1
	ds_load_2addr_b32 v[28:29], v25 offset1:2
	s_wait_dscnt 0x0
	s_clause 0x1
	global_store_b32 v[16:17], v28, off
	global_store_b32 v[20:21], v29, off
.LBB43_13:                              ;   in Loop: Header=BB43_3 Depth=1
	s_wait_xcnt 0x0
	s_or_b32 exec_lo, exec_lo, s0
	v_or_b32_e32 v14, 16, v14
	s_delay_alu instid0(VALU_DEP_1) | instskip(SKIP_1) | instid1(SALU_CYCLE_1)
	v_cmp_gt_u32_e64 s0, s16, v14
	s_and_b32 s34, s0, s1
	s_and_saveexec_b32 s1, s34
	s_cbranch_execz .LBB43_15
; %bb.14:                               ;   in Loop: Header=BB43_3 Depth=1
	s_wait_dscnt 0x1
	s_clause 0x1
	global_store_b32 v[16:17], v18, off offset:64
	global_store_b32 v[20:21], v19, off offset:64
.LBB43_15:                              ;   in Loop: Header=BB43_3 Depth=1
	s_wait_xcnt 0x0
	s_or_b32 exec_lo, exec_lo, s1
	v_add_nc_u32_e32 v0, 32, v0
	v_lshl_add_u64 v[14:15], s[30:31], 2, v[16:17]
	v_lshl_add_u64 v[16:17], s[28:29], 2, v[16:17]
	s_delay_alu instid0(VALU_DEP_3) | instskip(SKIP_1) | instid1(SALU_CYCLE_1)
	v_cmp_gt_u32_e64 s1, s5, v0
	s_and_b32 s35, vcc_lo, s1
	s_and_saveexec_b32 s34, s35
	s_cbranch_execz .LBB43_17
; %bb.16:                               ;   in Loop: Header=BB43_3 Depth=1
	s_wait_dscnt 0x0
	s_clause 0x1
	global_store_b32 v[16:17], v10, off
	global_store_b32 v[14:15], v12, off
.LBB43_17:                              ;   in Loop: Header=BB43_3 Depth=1
	s_wait_xcnt 0x0
	s_or_b32 exec_lo, exec_lo, s34
	s_and_b32 s1, s0, s1
	s_delay_alu instid0(SALU_CYCLE_1)
	s_and_saveexec_b32 s0, s1
	s_cbranch_execz .LBB43_2
; %bb.18:                               ;   in Loop: Header=BB43_3 Depth=1
	s_wait_dscnt 0x0
	s_clause 0x1
	global_store_b32 v[16:17], v11, off offset:64
	global_store_b32 v[14:15], v13, off offset:64
	s_branch .LBB43_2
.LBB43_19:
	s_endpgm
	.section	.rodata,"a",@progbits
	.p2align	6, 0x0
	.amdhsa_kernel batched_transpose_64x64_pack_4x4_ediv_2x2_half
		.amdhsa_group_segment_fixed_size 8704
		.amdhsa_private_segment_fixed_size 0
		.amdhsa_kernarg_size 48
		.amdhsa_user_sgpr_count 2
		.amdhsa_user_sgpr_dispatch_ptr 0
		.amdhsa_user_sgpr_queue_ptr 0
		.amdhsa_user_sgpr_kernarg_segment_ptr 1
		.amdhsa_user_sgpr_dispatch_id 0
		.amdhsa_user_sgpr_kernarg_preload_length 0
		.amdhsa_user_sgpr_kernarg_preload_offset 0
		.amdhsa_user_sgpr_private_segment_size 0
		.amdhsa_wavefront_size32 1
		.amdhsa_uses_dynamic_stack 0
		.amdhsa_enable_private_segment 0
		.amdhsa_system_sgpr_workgroup_id_x 1
		.amdhsa_system_sgpr_workgroup_id_y 0
		.amdhsa_system_sgpr_workgroup_id_z 0
		.amdhsa_system_sgpr_workgroup_info 0
		.amdhsa_system_vgpr_workitem_id 0
		.amdhsa_next_free_vgpr 32
		.amdhsa_next_free_sgpr 42
		.amdhsa_named_barrier_count 0
		.amdhsa_reserve_vcc 1
		.amdhsa_float_round_mode_32 0
		.amdhsa_float_round_mode_16_64 0
		.amdhsa_float_denorm_mode_32 3
		.amdhsa_float_denorm_mode_16_64 3
		.amdhsa_fp16_overflow 0
		.amdhsa_memory_ordered 1
		.amdhsa_forward_progress 1
		.amdhsa_inst_pref_size 11
		.amdhsa_round_robin_scheduling 0
		.amdhsa_exception_fp_ieee_invalid_op 0
		.amdhsa_exception_fp_denorm_src 0
		.amdhsa_exception_fp_ieee_div_zero 0
		.amdhsa_exception_fp_ieee_overflow 0
		.amdhsa_exception_fp_ieee_underflow 0
		.amdhsa_exception_fp_ieee_inexact 0
		.amdhsa_exception_int_div_zero 0
	.end_amdhsa_kernel
	.text
.Lfunc_end43:
	.size	batched_transpose_64x64_pack_4x4_ediv_2x2_half, .Lfunc_end43-batched_transpose_64x64_pack_4x4_ediv_2x2_half
                                        ; -- End function
	.set batched_transpose_64x64_pack_4x4_ediv_2x2_half.num_vgpr, 32
	.set batched_transpose_64x64_pack_4x4_ediv_2x2_half.num_agpr, 0
	.set batched_transpose_64x64_pack_4x4_ediv_2x2_half.numbered_sgpr, 42
	.set batched_transpose_64x64_pack_4x4_ediv_2x2_half.num_named_barrier, 0
	.set batched_transpose_64x64_pack_4x4_ediv_2x2_half.private_seg_size, 0
	.set batched_transpose_64x64_pack_4x4_ediv_2x2_half.uses_vcc, 1
	.set batched_transpose_64x64_pack_4x4_ediv_2x2_half.uses_flat_scratch, 0
	.set batched_transpose_64x64_pack_4x4_ediv_2x2_half.has_dyn_sized_stack, 0
	.set batched_transpose_64x64_pack_4x4_ediv_2x2_half.has_recursion, 0
	.set batched_transpose_64x64_pack_4x4_ediv_2x2_half.has_indirect_call, 0
	.section	.AMDGPU.csdata,"",@progbits
; Kernel info:
; codeLenInByte = 1304
; TotalNumSgprs: 44
; NumVgprs: 32
; ScratchSize: 0
; MemoryBound: 0
; FloatMode: 240
; IeeeMode: 1
; LDSByteSize: 8704 bytes/workgroup (compile time only)
; SGPRBlocks: 0
; VGPRBlocks: 1
; NumSGPRsForWavesPerEU: 44
; NumVGPRsForWavesPerEU: 32
; NamedBarCnt: 0
; Occupancy: 16
; WaveLimiterHint : 0
; COMPUTE_PGM_RSRC2:SCRATCH_EN: 0
; COMPUTE_PGM_RSRC2:USER_SGPR: 2
; COMPUTE_PGM_RSRC2:TRAP_HANDLER: 0
; COMPUTE_PGM_RSRC2:TGID_X_EN: 1
; COMPUTE_PGM_RSRC2:TGID_Y_EN: 0
; COMPUTE_PGM_RSRC2:TGID_Z_EN: 0
; COMPUTE_PGM_RSRC2:TIDIG_COMP_CNT: 0
	.text
	.p2alignl 7, 3214868480
	.fill 96, 4, 3214868480
	.section	.AMDGPU.gpr_maximums,"",@progbits
	.set amdgpu.max_num_vgpr, 0
	.set amdgpu.max_num_agpr, 0
	.set amdgpu.max_num_sgpr, 0
	.text
	.type	__hip_cuid_181dfcc92971119f,@object ; @__hip_cuid_181dfcc92971119f
	.section	.bss,"aw",@nobits
	.globl	__hip_cuid_181dfcc92971119f
__hip_cuid_181dfcc92971119f:
	.byte	0                               ; 0x0
	.size	__hip_cuid_181dfcc92971119f, 1

	.ident	"AMD clang version 22.0.0git (https://github.com/RadeonOpenCompute/llvm-project roc-7.2.4 26084 f58b06dce1f9c15707c5f808fd002e18c2accf7e)"
	.section	".note.GNU-stack","",@progbits
	.addrsig
	.addrsig_sym __hip_cuid_181dfcc92971119f
	.amdgpu_metadata
---
amdhsa.kernels:
  - .args:
      - .address_space:  global
        .offset:         0
        .size:           8
        .value_kind:     global_buffer
      - .address_space:  global
        .offset:         8
        .size:           8
        .value_kind:     global_buffer
      - .offset:         16
        .size:           4
        .value_kind:     by_value
      - .offset:         20
        .size:           4
        .value_kind:     by_value
      - .offset:         24
        .size:           4
        .value_kind:     by_value
      - .offset:         28
        .size:           4
        .value_kind:     by_value
      - .offset:         32
        .size:           4
        .value_kind:     by_value
      - .offset:         36
        .size:           4
        .value_kind:     by_value
      - .offset:         40
        .size:           4
        .value_kind:     by_value
      - .offset:         44
        .size:           4
        .value_kind:     by_value
    .group_segment_fixed_size: 1088
    .kernarg_segment_align: 8
    .kernarg_segment_size: 48
    .language:       OpenCL C
    .language_version:
      - 2
      - 0
    .max_flat_workgroup_size: 256
    .name:           batched_transpose_16x16_dword
    .private_segment_fixed_size: 0
    .sgpr_count:     32
    .sgpr_spill_count: 0
    .symbol:         batched_transpose_16x16_dword.kd
    .uniform_work_group_size: 1
    .uses_dynamic_stack: false
    .vgpr_count:     10
    .vgpr_spill_count: 0
    .wavefront_size: 32
  - .args:
      - .address_space:  global
        .offset:         0
        .size:           8
        .value_kind:     global_buffer
      - .address_space:  global
        .offset:         8
        .size:           8
        .value_kind:     global_buffer
      - .offset:         16
        .size:           4
        .value_kind:     by_value
      - .offset:         20
        .size:           4
        .value_kind:     by_value
      - .offset:         24
        .size:           4
        .value_kind:     by_value
      - .offset:         28
        .size:           4
        .value_kind:     by_value
      - .offset:         32
        .size:           4
        .value_kind:     by_value
      - .offset:         36
        .size:           4
        .value_kind:     by_value
      - .offset:         40
        .size:           4
        .value_kind:     by_value
      - .offset:         44
        .size:           4
        .value_kind:     by_value
    .group_segment_fixed_size: 576
    .kernarg_segment_align: 8
    .kernarg_segment_size: 48
    .language:       OpenCL C
    .language_version:
      - 2
      - 0
    .max_flat_workgroup_size: 256
    .name:           batched_transpose_16x16_half
    .private_segment_fixed_size: 0
    .sgpr_count:     32
    .sgpr_spill_count: 0
    .symbol:         batched_transpose_16x16_half.kd
    .uniform_work_group_size: 1
    .uses_dynamic_stack: false
    .vgpr_count:     10
    .vgpr_spill_count: 0
    .wavefront_size: 32
  - .args:
      - .address_space:  global
        .offset:         0
        .size:           8
        .value_kind:     global_buffer
      - .address_space:  global
        .offset:         8
        .size:           8
        .value_kind:     global_buffer
      - .offset:         16
        .size:           4
        .value_kind:     by_value
      - .offset:         20
        .size:           4
        .value_kind:     by_value
      - .offset:         24
        .size:           4
        .value_kind:     by_value
      - .offset:         28
        .size:           4
        .value_kind:     by_value
      - .offset:         32
        .size:           4
        .value_kind:     by_value
      - .offset:         36
        .size:           4
        .value_kind:     by_value
      - .offset:         40
        .size:           4
        .value_kind:     by_value
      - .offset:         44
        .size:           4
        .value_kind:     by_value
    .group_segment_fixed_size: 320
    .kernarg_segment_align: 8
    .kernarg_segment_size: 48
    .language:       OpenCL C
    .language_version:
      - 2
      - 0
    .max_flat_workgroup_size: 256
    .name:           batched_transpose_16x16_byte
    .private_segment_fixed_size: 0
    .sgpr_count:     30
    .sgpr_spill_count: 0
    .symbol:         batched_transpose_16x16_byte.kd
    .uniform_work_group_size: 1
    .uses_dynamic_stack: false
    .vgpr_count:     12
    .vgpr_spill_count: 0
    .wavefront_size: 32
  - .args:
      - .address_space:  global
        .offset:         0
        .size:           8
        .value_kind:     global_buffer
      - .address_space:  global
        .offset:         8
        .size:           8
        .value_kind:     global_buffer
      - .offset:         16
        .size:           4
        .value_kind:     by_value
      - .offset:         20
        .size:           4
        .value_kind:     by_value
      - .offset:         24
        .size:           4
        .value_kind:     by_value
      - .offset:         28
        .size:           4
        .value_kind:     by_value
      - .offset:         32
        .size:           4
        .value_kind:     by_value
      - .offset:         36
        .size:           4
        .value_kind:     by_value
      - .offset:         40
        .size:           4
        .value_kind:     by_value
      - .offset:         44
        .size:           4
        .value_kind:     by_value
    .group_segment_fixed_size: 2176
    .kernarg_segment_align: 8
    .kernarg_segment_size: 48
    .language:       OpenCL C
    .language_version:
      - 2
      - 0
    .max_flat_workgroup_size: 256
    .name:           batched_transpose_32x16_dword
    .private_segment_fixed_size: 0
    .sgpr_count:     30
    .sgpr_spill_count: 0
    .symbol:         batched_transpose_32x16_dword.kd
    .uniform_work_group_size: 1
    .uses_dynamic_stack: false
    .vgpr_count:     14
    .vgpr_spill_count: 0
    .wavefront_size: 32
  - .args:
      - .address_space:  global
        .offset:         0
        .size:           8
        .value_kind:     global_buffer
      - .address_space:  global
        .offset:         8
        .size:           8
        .value_kind:     global_buffer
      - .offset:         16
        .size:           4
        .value_kind:     by_value
      - .offset:         20
        .size:           4
        .value_kind:     by_value
      - .offset:         24
        .size:           4
        .value_kind:     by_value
      - .offset:         28
        .size:           4
        .value_kind:     by_value
      - .offset:         32
        .size:           4
        .value_kind:     by_value
      - .offset:         36
        .size:           4
        .value_kind:     by_value
      - .offset:         40
        .size:           4
        .value_kind:     by_value
      - .offset:         44
        .size:           4
        .value_kind:     by_value
    .group_segment_fixed_size: 1152
    .kernarg_segment_align: 8
    .kernarg_segment_size: 48
    .language:       OpenCL C
    .language_version:
      - 2
      - 0
    .max_flat_workgroup_size: 256
    .name:           batched_transpose_32x16_half
    .private_segment_fixed_size: 0
    .sgpr_count:     30
    .sgpr_spill_count: 0
    .symbol:         batched_transpose_32x16_half.kd
    .uniform_work_group_size: 1
    .uses_dynamic_stack: false
    .vgpr_count:     14
    .vgpr_spill_count: 0
    .wavefront_size: 32
  - .args:
      - .address_space:  global
        .offset:         0
        .size:           8
        .value_kind:     global_buffer
      - .address_space:  global
        .offset:         8
        .size:           8
        .value_kind:     global_buffer
      - .offset:         16
        .size:           4
        .value_kind:     by_value
      - .offset:         20
        .size:           4
        .value_kind:     by_value
      - .offset:         24
        .size:           4
        .value_kind:     by_value
      - .offset:         28
        .size:           4
        .value_kind:     by_value
      - .offset:         32
        .size:           4
        .value_kind:     by_value
      - .offset:         36
        .size:           4
        .value_kind:     by_value
      - .offset:         40
        .size:           4
        .value_kind:     by_value
      - .offset:         44
        .size:           4
        .value_kind:     by_value
    .group_segment_fixed_size: 640
    .kernarg_segment_align: 8
    .kernarg_segment_size: 48
    .language:       OpenCL C
    .language_version:
      - 2
      - 0
    .max_flat_workgroup_size: 256
    .name:           batched_transpose_32x16_byte
    .private_segment_fixed_size: 0
    .sgpr_count:     30
    .sgpr_spill_count: 0
    .symbol:         batched_transpose_32x16_byte.kd
    .uniform_work_group_size: 1
    .uses_dynamic_stack: false
    .vgpr_count:     14
    .vgpr_spill_count: 0
    .wavefront_size: 32
  - .args:
      - .address_space:  global
        .offset:         0
        .size:           8
        .value_kind:     global_buffer
      - .address_space:  global
        .offset:         8
        .size:           8
        .value_kind:     global_buffer
      - .offset:         16
        .size:           4
        .value_kind:     by_value
      - .offset:         20
        .size:           4
        .value_kind:     by_value
      - .offset:         24
        .size:           4
        .value_kind:     by_value
      - .offset:         28
        .size:           4
        .value_kind:     by_value
      - .offset:         32
        .size:           4
        .value_kind:     by_value
      - .offset:         36
        .size:           4
        .value_kind:     by_value
      - .offset:         40
        .size:           4
        .value_kind:     by_value
      - .offset:         44
        .size:           4
        .value_kind:     by_value
    .group_segment_fixed_size: 2176
    .kernarg_segment_align: 8
    .kernarg_segment_size: 48
    .language:       OpenCL C
    .language_version:
      - 2
      - 0
    .max_flat_workgroup_size: 256
    .name:           batched_transpose_16x32_dword
    .private_segment_fixed_size: 0
    .sgpr_count:     30
    .sgpr_spill_count: 0
    .symbol:         batched_transpose_16x32_dword.kd
    .uniform_work_group_size: 1
    .uses_dynamic_stack: false
    .vgpr_count:     14
    .vgpr_spill_count: 0
    .wavefront_size: 32
  - .args:
      - .address_space:  global
        .offset:         0
        .size:           8
        .value_kind:     global_buffer
      - .address_space:  global
        .offset:         8
        .size:           8
        .value_kind:     global_buffer
      - .offset:         16
        .size:           4
        .value_kind:     by_value
      - .offset:         20
        .size:           4
        .value_kind:     by_value
      - .offset:         24
        .size:           4
        .value_kind:     by_value
      - .offset:         28
        .size:           4
        .value_kind:     by_value
      - .offset:         32
        .size:           4
        .value_kind:     by_value
      - .offset:         36
        .size:           4
        .value_kind:     by_value
      - .offset:         40
        .size:           4
        .value_kind:     by_value
      - .offset:         44
        .size:           4
        .value_kind:     by_value
    .group_segment_fixed_size: 1152
    .kernarg_segment_align: 8
    .kernarg_segment_size: 48
    .language:       OpenCL C
    .language_version:
      - 2
      - 0
    .max_flat_workgroup_size: 256
    .name:           batched_transpose_16x32_half
    .private_segment_fixed_size: 0
    .sgpr_count:     30
    .sgpr_spill_count: 0
    .symbol:         batched_transpose_16x32_half.kd
    .uniform_work_group_size: 1
    .uses_dynamic_stack: false
    .vgpr_count:     14
    .vgpr_spill_count: 0
    .wavefront_size: 32
  - .args:
      - .address_space:  global
        .offset:         0
        .size:           8
        .value_kind:     global_buffer
      - .address_space:  global
        .offset:         8
        .size:           8
        .value_kind:     global_buffer
      - .offset:         16
        .size:           4
        .value_kind:     by_value
      - .offset:         20
        .size:           4
        .value_kind:     by_value
      - .offset:         24
        .size:           4
        .value_kind:     by_value
      - .offset:         28
        .size:           4
        .value_kind:     by_value
      - .offset:         32
        .size:           4
        .value_kind:     by_value
      - .offset:         36
        .size:           4
        .value_kind:     by_value
      - .offset:         40
        .size:           4
        .value_kind:     by_value
      - .offset:         44
        .size:           4
        .value_kind:     by_value
    .group_segment_fixed_size: 640
    .kernarg_segment_align: 8
    .kernarg_segment_size: 48
    .language:       OpenCL C
    .language_version:
      - 2
      - 0
    .max_flat_workgroup_size: 256
    .name:           batched_transpose_16x32_byte
    .private_segment_fixed_size: 0
    .sgpr_count:     30
    .sgpr_spill_count: 0
    .symbol:         batched_transpose_16x32_byte.kd
    .uniform_work_group_size: 1
    .uses_dynamic_stack: false
    .vgpr_count:     14
    .vgpr_spill_count: 0
    .wavefront_size: 32
  - .args:
      - .address_space:  global
        .offset:         0
        .size:           8
        .value_kind:     global_buffer
      - .address_space:  global
        .offset:         8
        .size:           8
        .value_kind:     global_buffer
      - .offset:         16
        .size:           4
        .value_kind:     by_value
      - .offset:         20
        .size:           4
        .value_kind:     by_value
      - .offset:         24
        .size:           4
        .value_kind:     by_value
      - .offset:         28
        .size:           4
        .value_kind:     by_value
      - .offset:         32
        .size:           4
        .value_kind:     by_value
      - .offset:         36
        .size:           4
        .value_kind:     by_value
      - .offset:         40
        .size:           4
        .value_kind:     by_value
      - .offset:         44
        .size:           4
        .value_kind:     by_value
    .group_segment_fixed_size: 4352
    .kernarg_segment_align: 8
    .kernarg_segment_size: 48
    .language:       OpenCL C
    .language_version:
      - 2
      - 0
    .max_flat_workgroup_size: 256
    .name:           batched_transpose_32x32_dword
    .private_segment_fixed_size: 0
    .sgpr_count:     34
    .sgpr_spill_count: 0
    .symbol:         batched_transpose_32x32_dword.kd
    .uniform_work_group_size: 1
    .uses_dynamic_stack: false
    .vgpr_count:     19
    .vgpr_spill_count: 0
    .wavefront_size: 32
  - .args:
      - .address_space:  global
        .offset:         0
        .size:           8
        .value_kind:     global_buffer
      - .address_space:  global
        .offset:         8
        .size:           8
        .value_kind:     global_buffer
      - .offset:         16
        .size:           4
        .value_kind:     by_value
      - .offset:         20
        .size:           4
        .value_kind:     by_value
      - .offset:         24
        .size:           4
        .value_kind:     by_value
      - .offset:         28
        .size:           4
        .value_kind:     by_value
      - .offset:         32
        .size:           4
        .value_kind:     by_value
      - .offset:         36
        .size:           4
        .value_kind:     by_value
      - .offset:         40
        .size:           4
        .value_kind:     by_value
      - .offset:         44
        .size:           4
        .value_kind:     by_value
    .group_segment_fixed_size: 2176
    .kernarg_segment_align: 8
    .kernarg_segment_size: 48
    .language:       OpenCL C
    .language_version:
      - 2
      - 0
    .max_flat_workgroup_size: 256
    .name:           batched_transpose_32x32_half
    .private_segment_fixed_size: 0
    .sgpr_count:     34
    .sgpr_spill_count: 0
    .symbol:         batched_transpose_32x32_half.kd
    .uniform_work_group_size: 1
    .uses_dynamic_stack: false
    .vgpr_count:     18
    .vgpr_spill_count: 0
    .wavefront_size: 32
  - .args:
      - .address_space:  global
        .offset:         0
        .size:           8
        .value_kind:     global_buffer
      - .address_space:  global
        .offset:         8
        .size:           8
        .value_kind:     global_buffer
      - .offset:         16
        .size:           4
        .value_kind:     by_value
      - .offset:         20
        .size:           4
        .value_kind:     by_value
      - .offset:         24
        .size:           4
        .value_kind:     by_value
      - .offset:         28
        .size:           4
        .value_kind:     by_value
      - .offset:         32
        .size:           4
        .value_kind:     by_value
      - .offset:         36
        .size:           4
        .value_kind:     by_value
      - .offset:         40
        .size:           4
        .value_kind:     by_value
      - .offset:         44
        .size:           4
        .value_kind:     by_value
    .group_segment_fixed_size: 1088
    .kernarg_segment_align: 8
    .kernarg_segment_size: 48
    .language:       OpenCL C
    .language_version:
      - 2
      - 0
    .max_flat_workgroup_size: 256
    .name:           batched_transpose_32x32_byte
    .private_segment_fixed_size: 0
    .sgpr_count:     34
    .sgpr_spill_count: 0
    .symbol:         batched_transpose_32x32_byte.kd
    .uniform_work_group_size: 1
    .uses_dynamic_stack: false
    .vgpr_count:     18
    .vgpr_spill_count: 0
    .wavefront_size: 32
  - .args:
      - .address_space:  global
        .offset:         0
        .size:           8
        .value_kind:     global_buffer
      - .address_space:  global
        .offset:         8
        .size:           8
        .value_kind:     global_buffer
      - .offset:         16
        .size:           4
        .value_kind:     by_value
      - .offset:         20
        .size:           4
        .value_kind:     by_value
      - .offset:         24
        .size:           4
        .value_kind:     by_value
      - .offset:         28
        .size:           4
        .value_kind:     by_value
      - .offset:         32
        .size:           4
        .value_kind:     by_value
      - .offset:         36
        .size:           4
        .value_kind:     by_value
      - .offset:         40
        .size:           4
        .value_kind:     by_value
      - .offset:         44
        .size:           4
        .value_kind:     by_value
    .group_segment_fixed_size: 0
    .kernarg_segment_align: 8
    .kernarg_segment_size: 48
    .language:       OpenCL C
    .language_version:
      - 2
      - 0
    .max_flat_workgroup_size: 256
    .name:           batched_transpose_4x256_dword
    .private_segment_fixed_size: 0
    .sgpr_count:     39
    .sgpr_spill_count: 0
    .symbol:         batched_transpose_4x256_dword.kd
    .uniform_work_group_size: 1
    .uses_dynamic_stack: false
    .vgpr_count:     12
    .vgpr_spill_count: 0
    .wavefront_size: 32
  - .args:
      - .address_space:  global
        .offset:         0
        .size:           8
        .value_kind:     global_buffer
      - .address_space:  global
        .offset:         8
        .size:           8
        .value_kind:     global_buffer
      - .offset:         16
        .size:           4
        .value_kind:     by_value
      - .offset:         20
        .size:           4
        .value_kind:     by_value
      - .offset:         24
        .size:           4
        .value_kind:     by_value
      - .offset:         28
        .size:           4
        .value_kind:     by_value
      - .offset:         32
        .size:           4
        .value_kind:     by_value
      - .offset:         36
        .size:           4
        .value_kind:     by_value
      - .offset:         40
        .size:           4
        .value_kind:     by_value
      - .offset:         44
        .size:           4
        .value_kind:     by_value
    .group_segment_fixed_size: 0
    .kernarg_segment_align: 8
    .kernarg_segment_size: 48
    .language:       OpenCL C
    .language_version:
      - 2
      - 0
    .max_flat_workgroup_size: 256
    .name:           batched_transpose_4x256_half
    .private_segment_fixed_size: 0
    .sgpr_count:     39
    .sgpr_spill_count: 0
    .symbol:         batched_transpose_4x256_half.kd
    .uniform_work_group_size: 1
    .uses_dynamic_stack: false
    .vgpr_count:     12
    .vgpr_spill_count: 0
    .wavefront_size: 32
  - .args:
      - .address_space:  global
        .offset:         0
        .size:           8
        .value_kind:     global_buffer
      - .address_space:  global
        .offset:         8
        .size:           8
        .value_kind:     global_buffer
      - .offset:         16
        .size:           4
        .value_kind:     by_value
      - .offset:         20
        .size:           4
        .value_kind:     by_value
      - .offset:         24
        .size:           4
        .value_kind:     by_value
      - .offset:         28
        .size:           4
        .value_kind:     by_value
      - .offset:         32
        .size:           4
        .value_kind:     by_value
      - .offset:         36
        .size:           4
        .value_kind:     by_value
      - .offset:         40
        .size:           4
        .value_kind:     by_value
      - .offset:         44
        .size:           4
        .value_kind:     by_value
    .group_segment_fixed_size: 0
    .kernarg_segment_align: 8
    .kernarg_segment_size: 48
    .language:       OpenCL C
    .language_version:
      - 2
      - 0
    .max_flat_workgroup_size: 256
    .name:           batched_transpose_4x256_byte
    .private_segment_fixed_size: 0
    .sgpr_count:     39
    .sgpr_spill_count: 0
    .symbol:         batched_transpose_4x256_byte.kd
    .uniform_work_group_size: 1
    .uses_dynamic_stack: false
    .vgpr_count:     12
    .vgpr_spill_count: 0
    .wavefront_size: 32
  - .args:
      - .address_space:  global
        .offset:         0
        .size:           8
        .value_kind:     global_buffer
      - .address_space:  global
        .offset:         8
        .size:           8
        .value_kind:     global_buffer
      - .offset:         16
        .size:           4
        .value_kind:     by_value
      - .offset:         20
        .size:           4
        .value_kind:     by_value
      - .offset:         24
        .size:           4
        .value_kind:     by_value
      - .offset:         28
        .size:           4
        .value_kind:     by_value
      - .offset:         32
        .size:           4
        .value_kind:     by_value
      - .offset:         36
        .size:           4
        .value_kind:     by_value
      - .offset:         40
        .size:           4
        .value_kind:     by_value
      - .offset:         44
        .size:           4
        .value_kind:     by_value
    .group_segment_fixed_size: 0
    .kernarg_segment_align: 8
    .kernarg_segment_size: 48
    .language:       OpenCL C
    .language_version:
      - 2
      - 0
    .max_flat_workgroup_size: 256
    .name:           batched_transpose_256x4_dword
    .private_segment_fixed_size: 0
    .sgpr_count:     39
    .sgpr_spill_count: 0
    .symbol:         batched_transpose_256x4_dword.kd
    .uniform_work_group_size: 1
    .uses_dynamic_stack: false
    .vgpr_count:     12
    .vgpr_spill_count: 0
    .wavefront_size: 32
  - .args:
      - .address_space:  global
        .offset:         0
        .size:           8
        .value_kind:     global_buffer
      - .address_space:  global
        .offset:         8
        .size:           8
        .value_kind:     global_buffer
      - .offset:         16
        .size:           4
        .value_kind:     by_value
      - .offset:         20
        .size:           4
        .value_kind:     by_value
      - .offset:         24
        .size:           4
        .value_kind:     by_value
      - .offset:         28
        .size:           4
        .value_kind:     by_value
      - .offset:         32
        .size:           4
        .value_kind:     by_value
      - .offset:         36
        .size:           4
        .value_kind:     by_value
      - .offset:         40
        .size:           4
        .value_kind:     by_value
      - .offset:         44
        .size:           4
        .value_kind:     by_value
    .group_segment_fixed_size: 0
    .kernarg_segment_align: 8
    .kernarg_segment_size: 48
    .language:       OpenCL C
    .language_version:
      - 2
      - 0
    .max_flat_workgroup_size: 256
    .name:           batched_transpose_256x4_half
    .private_segment_fixed_size: 0
    .sgpr_count:     39
    .sgpr_spill_count: 0
    .symbol:         batched_transpose_256x4_half.kd
    .uniform_work_group_size: 1
    .uses_dynamic_stack: false
    .vgpr_count:     12
    .vgpr_spill_count: 0
    .wavefront_size: 32
  - .args:
      - .address_space:  global
        .offset:         0
        .size:           8
        .value_kind:     global_buffer
      - .address_space:  global
        .offset:         8
        .size:           8
        .value_kind:     global_buffer
      - .offset:         16
        .size:           4
        .value_kind:     by_value
      - .offset:         20
        .size:           4
        .value_kind:     by_value
      - .offset:         24
        .size:           4
        .value_kind:     by_value
      - .offset:         28
        .size:           4
        .value_kind:     by_value
      - .offset:         32
        .size:           4
        .value_kind:     by_value
      - .offset:         36
        .size:           4
        .value_kind:     by_value
      - .offset:         40
        .size:           4
        .value_kind:     by_value
      - .offset:         44
        .size:           4
        .value_kind:     by_value
    .group_segment_fixed_size: 0
    .kernarg_segment_align: 8
    .kernarg_segment_size: 48
    .language:       OpenCL C
    .language_version:
      - 2
      - 0
    .max_flat_workgroup_size: 256
    .name:           batched_transpose_256x4_byte
    .private_segment_fixed_size: 0
    .sgpr_count:     39
    .sgpr_spill_count: 0
    .symbol:         batched_transpose_256x4_byte.kd
    .uniform_work_group_size: 1
    .uses_dynamic_stack: false
    .vgpr_count:     12
    .vgpr_spill_count: 0
    .wavefront_size: 32
  - .args:
      - .address_space:  global
        .offset:         0
        .size:           8
        .value_kind:     global_buffer
      - .address_space:  global
        .offset:         8
        .size:           8
        .value_kind:     global_buffer
      - .offset:         16
        .size:           4
        .value_kind:     by_value
      - .offset:         20
        .size:           4
        .value_kind:     by_value
      - .offset:         24
        .size:           4
        .value_kind:     by_value
      - .offset:         28
        .size:           4
        .value_kind:     by_value
      - .offset:         32
        .size:           4
        .value_kind:     by_value
      - .offset:         36
        .size:           4
        .value_kind:     by_value
      - .offset:         40
        .size:           4
        .value_kind:     by_value
      - .offset:         44
        .size:           4
        .value_kind:     by_value
    .group_segment_fixed_size: 0
    .kernarg_segment_align: 8
    .kernarg_segment_size: 48
    .language:       OpenCL C
    .language_version:
      - 2
      - 0
    .max_flat_workgroup_size: 256
    .name:           batched_transpose_4x128_dword
    .private_segment_fixed_size: 0
    .sgpr_count:     30
    .sgpr_spill_count: 0
    .symbol:         batched_transpose_4x128_dword.kd
    .uniform_work_group_size: 1
    .uses_dynamic_stack: false
    .vgpr_count:     12
    .vgpr_spill_count: 0
    .wavefront_size: 32
  - .args:
      - .address_space:  global
        .offset:         0
        .size:           8
        .value_kind:     global_buffer
      - .address_space:  global
        .offset:         8
        .size:           8
        .value_kind:     global_buffer
      - .offset:         16
        .size:           4
        .value_kind:     by_value
      - .offset:         20
        .size:           4
        .value_kind:     by_value
      - .offset:         24
        .size:           4
        .value_kind:     by_value
      - .offset:         28
        .size:           4
        .value_kind:     by_value
      - .offset:         32
        .size:           4
        .value_kind:     by_value
      - .offset:         36
        .size:           4
        .value_kind:     by_value
      - .offset:         40
        .size:           4
        .value_kind:     by_value
      - .offset:         44
        .size:           4
        .value_kind:     by_value
    .group_segment_fixed_size: 0
    .kernarg_segment_align: 8
    .kernarg_segment_size: 48
    .language:       OpenCL C
    .language_version:
      - 2
      - 0
    .max_flat_workgroup_size: 256
    .name:           batched_transpose_4x128_half
    .private_segment_fixed_size: 0
    .sgpr_count:     30
    .sgpr_spill_count: 0
    .symbol:         batched_transpose_4x128_half.kd
    .uniform_work_group_size: 1
    .uses_dynamic_stack: false
    .vgpr_count:     12
    .vgpr_spill_count: 0
    .wavefront_size: 32
  - .args:
      - .address_space:  global
        .offset:         0
        .size:           8
        .value_kind:     global_buffer
      - .address_space:  global
        .offset:         8
        .size:           8
        .value_kind:     global_buffer
      - .offset:         16
        .size:           4
        .value_kind:     by_value
      - .offset:         20
        .size:           4
        .value_kind:     by_value
      - .offset:         24
        .size:           4
        .value_kind:     by_value
      - .offset:         28
        .size:           4
        .value_kind:     by_value
      - .offset:         32
        .size:           4
        .value_kind:     by_value
      - .offset:         36
        .size:           4
        .value_kind:     by_value
      - .offset:         40
        .size:           4
        .value_kind:     by_value
      - .offset:         44
        .size:           4
        .value_kind:     by_value
    .group_segment_fixed_size: 0
    .kernarg_segment_align: 8
    .kernarg_segment_size: 48
    .language:       OpenCL C
    .language_version:
      - 2
      - 0
    .max_flat_workgroup_size: 256
    .name:           batched_transpose_4x128_byte
    .private_segment_fixed_size: 0
    .sgpr_count:     30
    .sgpr_spill_count: 0
    .symbol:         batched_transpose_4x128_byte.kd
    .uniform_work_group_size: 1
    .uses_dynamic_stack: false
    .vgpr_count:     12
    .vgpr_spill_count: 0
    .wavefront_size: 32
  - .args:
      - .address_space:  global
        .offset:         0
        .size:           8
        .value_kind:     global_buffer
      - .address_space:  global
        .offset:         8
        .size:           8
        .value_kind:     global_buffer
      - .offset:         16
        .size:           4
        .value_kind:     by_value
      - .offset:         20
        .size:           4
        .value_kind:     by_value
      - .offset:         24
        .size:           4
        .value_kind:     by_value
      - .offset:         28
        .size:           4
        .value_kind:     by_value
      - .offset:         32
        .size:           4
        .value_kind:     by_value
      - .offset:         36
        .size:           4
        .value_kind:     by_value
      - .offset:         40
        .size:           4
        .value_kind:     by_value
      - .offset:         44
        .size:           4
        .value_kind:     by_value
    .group_segment_fixed_size: 0
    .kernarg_segment_align: 8
    .kernarg_segment_size: 48
    .language:       OpenCL C
    .language_version:
      - 2
      - 0
    .max_flat_workgroup_size: 256
    .name:           batched_transpose_128x4_dword
    .private_segment_fixed_size: 0
    .sgpr_count:     30
    .sgpr_spill_count: 0
    .symbol:         batched_transpose_128x4_dword.kd
    .uniform_work_group_size: 1
    .uses_dynamic_stack: false
    .vgpr_count:     12
    .vgpr_spill_count: 0
    .wavefront_size: 32
  - .args:
      - .address_space:  global
        .offset:         0
        .size:           8
        .value_kind:     global_buffer
      - .address_space:  global
        .offset:         8
        .size:           8
        .value_kind:     global_buffer
      - .offset:         16
        .size:           4
        .value_kind:     by_value
      - .offset:         20
        .size:           4
        .value_kind:     by_value
      - .offset:         24
        .size:           4
        .value_kind:     by_value
      - .offset:         28
        .size:           4
        .value_kind:     by_value
      - .offset:         32
        .size:           4
        .value_kind:     by_value
      - .offset:         36
        .size:           4
        .value_kind:     by_value
      - .offset:         40
        .size:           4
        .value_kind:     by_value
      - .offset:         44
        .size:           4
        .value_kind:     by_value
    .group_segment_fixed_size: 0
    .kernarg_segment_align: 8
    .kernarg_segment_size: 48
    .language:       OpenCL C
    .language_version:
      - 2
      - 0
    .max_flat_workgroup_size: 256
    .name:           batched_transpose_128x4_half
    .private_segment_fixed_size: 0
    .sgpr_count:     30
    .sgpr_spill_count: 0
    .symbol:         batched_transpose_128x4_half.kd
    .uniform_work_group_size: 1
    .uses_dynamic_stack: false
    .vgpr_count:     12
    .vgpr_spill_count: 0
    .wavefront_size: 32
  - .args:
      - .address_space:  global
        .offset:         0
        .size:           8
        .value_kind:     global_buffer
      - .address_space:  global
        .offset:         8
        .size:           8
        .value_kind:     global_buffer
      - .offset:         16
        .size:           4
        .value_kind:     by_value
      - .offset:         20
        .size:           4
        .value_kind:     by_value
      - .offset:         24
        .size:           4
        .value_kind:     by_value
      - .offset:         28
        .size:           4
        .value_kind:     by_value
      - .offset:         32
        .size:           4
        .value_kind:     by_value
      - .offset:         36
        .size:           4
        .value_kind:     by_value
      - .offset:         40
        .size:           4
        .value_kind:     by_value
      - .offset:         44
        .size:           4
        .value_kind:     by_value
    .group_segment_fixed_size: 0
    .kernarg_segment_align: 8
    .kernarg_segment_size: 48
    .language:       OpenCL C
    .language_version:
      - 2
      - 0
    .max_flat_workgroup_size: 256
    .name:           batched_transpose_128x4_byte
    .private_segment_fixed_size: 0
    .sgpr_count:     30
    .sgpr_spill_count: 0
    .symbol:         batched_transpose_128x4_byte.kd
    .uniform_work_group_size: 1
    .uses_dynamic_stack: false
    .vgpr_count:     12
    .vgpr_spill_count: 0
    .wavefront_size: 32
  - .args:
      - .address_space:  global
        .offset:         0
        .size:           8
        .value_kind:     global_buffer
      - .address_space:  global
        .offset:         8
        .size:           8
        .value_kind:     global_buffer
      - .offset:         16
        .size:           4
        .value_kind:     by_value
      - .offset:         20
        .size:           4
        .value_kind:     by_value
      - .offset:         24
        .size:           4
        .value_kind:     by_value
      - .offset:         28
        .size:           4
        .value_kind:     by_value
      - .offset:         32
        .size:           4
        .value_kind:     by_value
      - .offset:         36
        .size:           4
        .value_kind:     by_value
      - .offset:         40
        .size:           4
        .value_kind:     by_value
      - .offset:         44
        .size:           4
        .value_kind:     by_value
    .group_segment_fixed_size: 0
    .kernarg_segment_align: 8
    .kernarg_segment_size: 48
    .language:       OpenCL C
    .language_version:
      - 2
      - 0
    .max_flat_workgroup_size: 256
    .name:           batched_transpose_4x64_dword
    .private_segment_fixed_size: 0
    .sgpr_count:     30
    .sgpr_spill_count: 0
    .symbol:         batched_transpose_4x64_dword.kd
    .uniform_work_group_size: 1
    .uses_dynamic_stack: false
    .vgpr_count:     8
    .vgpr_spill_count: 0
    .wavefront_size: 32
  - .args:
      - .address_space:  global
        .offset:         0
        .size:           8
        .value_kind:     global_buffer
      - .address_space:  global
        .offset:         8
        .size:           8
        .value_kind:     global_buffer
      - .offset:         16
        .size:           4
        .value_kind:     by_value
      - .offset:         20
        .size:           4
        .value_kind:     by_value
      - .offset:         24
        .size:           4
        .value_kind:     by_value
      - .offset:         28
        .size:           4
        .value_kind:     by_value
      - .offset:         32
        .size:           4
        .value_kind:     by_value
      - .offset:         36
        .size:           4
        .value_kind:     by_value
      - .offset:         40
        .size:           4
        .value_kind:     by_value
      - .offset:         44
        .size:           4
        .value_kind:     by_value
    .group_segment_fixed_size: 0
    .kernarg_segment_align: 8
    .kernarg_segment_size: 48
    .language:       OpenCL C
    .language_version:
      - 2
      - 0
    .max_flat_workgroup_size: 256
    .name:           batched_transpose_4x64_half
    .private_segment_fixed_size: 0
    .sgpr_count:     30
    .sgpr_spill_count: 0
    .symbol:         batched_transpose_4x64_half.kd
    .uniform_work_group_size: 1
    .uses_dynamic_stack: false
    .vgpr_count:     8
    .vgpr_spill_count: 0
    .wavefront_size: 32
  - .args:
      - .address_space:  global
        .offset:         0
        .size:           8
        .value_kind:     global_buffer
      - .address_space:  global
        .offset:         8
        .size:           8
        .value_kind:     global_buffer
      - .offset:         16
        .size:           4
        .value_kind:     by_value
      - .offset:         20
        .size:           4
        .value_kind:     by_value
      - .offset:         24
        .size:           4
        .value_kind:     by_value
      - .offset:         28
        .size:           4
        .value_kind:     by_value
      - .offset:         32
        .size:           4
        .value_kind:     by_value
      - .offset:         36
        .size:           4
        .value_kind:     by_value
      - .offset:         40
        .size:           4
        .value_kind:     by_value
      - .offset:         44
        .size:           4
        .value_kind:     by_value
    .group_segment_fixed_size: 0
    .kernarg_segment_align: 8
    .kernarg_segment_size: 48
    .language:       OpenCL C
    .language_version:
      - 2
      - 0
    .max_flat_workgroup_size: 256
    .name:           batched_transpose_4x64_byte
    .private_segment_fixed_size: 0
    .sgpr_count:     28
    .sgpr_spill_count: 0
    .symbol:         batched_transpose_4x64_byte.kd
    .uniform_work_group_size: 1
    .uses_dynamic_stack: false
    .vgpr_count:     10
    .vgpr_spill_count: 0
    .wavefront_size: 32
  - .args:
      - .address_space:  global
        .offset:         0
        .size:           8
        .value_kind:     global_buffer
      - .address_space:  global
        .offset:         8
        .size:           8
        .value_kind:     global_buffer
      - .offset:         16
        .size:           4
        .value_kind:     by_value
      - .offset:         20
        .size:           4
        .value_kind:     by_value
      - .offset:         24
        .size:           4
        .value_kind:     by_value
      - .offset:         28
        .size:           4
        .value_kind:     by_value
      - .offset:         32
        .size:           4
        .value_kind:     by_value
      - .offset:         36
        .size:           4
        .value_kind:     by_value
      - .offset:         40
        .size:           4
        .value_kind:     by_value
      - .offset:         44
        .size:           4
        .value_kind:     by_value
    .group_segment_fixed_size: 0
    .kernarg_segment_align: 8
    .kernarg_segment_size: 48
    .language:       OpenCL C
    .language_version:
      - 2
      - 0
    .max_flat_workgroup_size: 256
    .name:           batched_transpose_64x4_dword
    .private_segment_fixed_size: 0
    .sgpr_count:     30
    .sgpr_spill_count: 0
    .symbol:         batched_transpose_64x4_dword.kd
    .uniform_work_group_size: 1
    .uses_dynamic_stack: false
    .vgpr_count:     8
    .vgpr_spill_count: 0
    .wavefront_size: 32
  - .args:
      - .address_space:  global
        .offset:         0
        .size:           8
        .value_kind:     global_buffer
      - .address_space:  global
        .offset:         8
        .size:           8
        .value_kind:     global_buffer
      - .offset:         16
        .size:           4
        .value_kind:     by_value
      - .offset:         20
        .size:           4
        .value_kind:     by_value
      - .offset:         24
        .size:           4
        .value_kind:     by_value
      - .offset:         28
        .size:           4
        .value_kind:     by_value
      - .offset:         32
        .size:           4
        .value_kind:     by_value
      - .offset:         36
        .size:           4
        .value_kind:     by_value
      - .offset:         40
        .size:           4
        .value_kind:     by_value
      - .offset:         44
        .size:           4
        .value_kind:     by_value
    .group_segment_fixed_size: 0
    .kernarg_segment_align: 8
    .kernarg_segment_size: 48
    .language:       OpenCL C
    .language_version:
      - 2
      - 0
    .max_flat_workgroup_size: 256
    .name:           batched_transpose_64x4_half
    .private_segment_fixed_size: 0
    .sgpr_count:     30
    .sgpr_spill_count: 0
    .symbol:         batched_transpose_64x4_half.kd
    .uniform_work_group_size: 1
    .uses_dynamic_stack: false
    .vgpr_count:     8
    .vgpr_spill_count: 0
    .wavefront_size: 32
  - .args:
      - .address_space:  global
        .offset:         0
        .size:           8
        .value_kind:     global_buffer
      - .address_space:  global
        .offset:         8
        .size:           8
        .value_kind:     global_buffer
      - .offset:         16
        .size:           4
        .value_kind:     by_value
      - .offset:         20
        .size:           4
        .value_kind:     by_value
      - .offset:         24
        .size:           4
        .value_kind:     by_value
      - .offset:         28
        .size:           4
        .value_kind:     by_value
      - .offset:         32
        .size:           4
        .value_kind:     by_value
      - .offset:         36
        .size:           4
        .value_kind:     by_value
      - .offset:         40
        .size:           4
        .value_kind:     by_value
      - .offset:         44
        .size:           4
        .value_kind:     by_value
    .group_segment_fixed_size: 0
    .kernarg_segment_align: 8
    .kernarg_segment_size: 48
    .language:       OpenCL C
    .language_version:
      - 2
      - 0
    .max_flat_workgroup_size: 256
    .name:           batched_transpose_64x4_byte
    .private_segment_fixed_size: 0
    .sgpr_count:     28
    .sgpr_spill_count: 0
    .symbol:         batched_transpose_64x4_byte.kd
    .uniform_work_group_size: 1
    .uses_dynamic_stack: false
    .vgpr_count:     10
    .vgpr_spill_count: 0
    .wavefront_size: 32
  - .args:
      - .address_space:  global
        .offset:         0
        .size:           8
        .value_kind:     global_buffer
      - .address_space:  global
        .offset:         8
        .size:           8
        .value_kind:     global_buffer
      - .offset:         16
        .size:           4
        .value_kind:     by_value
      - .offset:         20
        .size:           4
        .value_kind:     by_value
      - .offset:         24
        .size:           4
        .value_kind:     by_value
      - .offset:         28
        .size:           4
        .value_kind:     by_value
      - .offset:         32
        .size:           4
        .value_kind:     by_value
      - .offset:         36
        .size:           4
        .value_kind:     by_value
      - .offset:         40
        .size:           4
        .value_kind:     by_value
      - .offset:         44
        .size:           4
        .value_kind:     by_value
    .group_segment_fixed_size: 2176
    .kernarg_segment_align: 8
    .kernarg_segment_size: 48
    .language:       OpenCL C
    .language_version:
      - 2
      - 0
    .max_flat_workgroup_size: 256
    .name:           batched_transpose_32x32_pack_2x2_ediv_2x2_half
    .private_segment_fixed_size: 0
    .sgpr_count:     34
    .sgpr_spill_count: 0
    .symbol:         batched_transpose_32x32_pack_2x2_ediv_2x2_half.kd
    .uniform_work_group_size: 1
    .uses_dynamic_stack: false
    .vgpr_count:     13
    .vgpr_spill_count: 0
    .wavefront_size: 32
  - .args:
      - .address_space:  global
        .offset:         0
        .size:           8
        .value_kind:     global_buffer
      - .address_space:  global
        .offset:         8
        .size:           8
        .value_kind:     global_buffer
      - .offset:         16
        .size:           4
        .value_kind:     by_value
      - .offset:         20
        .size:           4
        .value_kind:     by_value
      - .offset:         24
        .size:           4
        .value_kind:     by_value
      - .offset:         28
        .size:           4
        .value_kind:     by_value
      - .offset:         32
        .size:           4
        .value_kind:     by_value
      - .offset:         36
        .size:           4
        .value_kind:     by_value
      - .offset:         40
        .size:           4
        .value_kind:     by_value
      - .offset:         44
        .size:           4
        .value_kind:     by_value
    .group_segment_fixed_size: 2176
    .kernarg_segment_align: 8
    .kernarg_segment_size: 48
    .language:       OpenCL C
    .language_version:
      - 2
      - 0
    .max_flat_workgroup_size: 256
    .name:           batched_transpose_32x32_pack_2x2_ediv_1x2_half
    .private_segment_fixed_size: 0
    .sgpr_count:     32
    .sgpr_spill_count: 0
    .symbol:         batched_transpose_32x32_pack_2x2_ediv_1x2_half.kd
    .uniform_work_group_size: 1
    .uses_dynamic_stack: false
    .vgpr_count:     15
    .vgpr_spill_count: 0
    .wavefront_size: 32
  - .args:
      - .address_space:  global
        .offset:         0
        .size:           8
        .value_kind:     global_buffer
      - .address_space:  global
        .offset:         8
        .size:           8
        .value_kind:     global_buffer
      - .offset:         16
        .size:           4
        .value_kind:     by_value
      - .offset:         20
        .size:           4
        .value_kind:     by_value
      - .offset:         24
        .size:           4
        .value_kind:     by_value
      - .offset:         28
        .size:           4
        .value_kind:     by_value
      - .offset:         32
        .size:           4
        .value_kind:     by_value
      - .offset:         36
        .size:           4
        .value_kind:     by_value
      - .offset:         40
        .size:           4
        .value_kind:     by_value
      - .offset:         44
        .size:           4
        .value_kind:     by_value
    .group_segment_fixed_size: 2176
    .kernarg_segment_align: 8
    .kernarg_segment_size: 48
    .language:       OpenCL C
    .language_version:
      - 2
      - 0
    .max_flat_workgroup_size: 256
    .name:           batched_transpose_32x32_pack_2x2_ediv_2x1_half
    .private_segment_fixed_size: 0
    .sgpr_count:     34
    .sgpr_spill_count: 0
    .symbol:         batched_transpose_32x32_pack_2x2_ediv_2x1_half.kd
    .uniform_work_group_size: 1
    .uses_dynamic_stack: false
    .vgpr_count:     18
    .vgpr_spill_count: 0
    .wavefront_size: 32
  - .args:
      - .address_space:  global
        .offset:         0
        .size:           8
        .value_kind:     global_buffer
      - .address_space:  global
        .offset:         8
        .size:           8
        .value_kind:     global_buffer
      - .offset:         16
        .size:           4
        .value_kind:     by_value
      - .offset:         20
        .size:           4
        .value_kind:     by_value
      - .offset:         24
        .size:           4
        .value_kind:     by_value
      - .offset:         28
        .size:           4
        .value_kind:     by_value
      - .offset:         32
        .size:           4
        .value_kind:     by_value
      - .offset:         36
        .size:           4
        .value_kind:     by_value
      - .offset:         40
        .size:           4
        .value_kind:     by_value
      - .offset:         44
        .size:           4
        .value_kind:     by_value
    .group_segment_fixed_size: 2176
    .kernarg_segment_align: 8
    .kernarg_segment_size: 48
    .language:       OpenCL C
    .language_version:
      - 2
      - 0
    .max_flat_workgroup_size: 256
    .name:           batched_transpose_32x32_pack_2x2_ediv_1x1_half
    .private_segment_fixed_size: 0
    .sgpr_count:     34
    .sgpr_spill_count: 0
    .symbol:         batched_transpose_32x32_pack_2x2_ediv_1x1_half.kd
    .uniform_work_group_size: 1
    .uses_dynamic_stack: false
    .vgpr_count:     16
    .vgpr_spill_count: 0
    .wavefront_size: 32
  - .args:
      - .address_space:  global
        .offset:         0
        .size:           8
        .value_kind:     global_buffer
      - .address_space:  global
        .offset:         8
        .size:           8
        .value_kind:     global_buffer
      - .offset:         16
        .size:           4
        .value_kind:     by_value
      - .offset:         20
        .size:           4
        .value_kind:     by_value
      - .offset:         24
        .size:           4
        .value_kind:     by_value
      - .offset:         28
        .size:           4
        .value_kind:     by_value
      - .offset:         32
        .size:           4
        .value_kind:     by_value
      - .offset:         36
        .size:           4
        .value_kind:     by_value
      - .offset:         40
        .size:           4
        .value_kind:     by_value
      - .offset:         44
        .size:           4
        .value_kind:     by_value
    .group_segment_fixed_size: 4352
    .kernarg_segment_align: 8
    .kernarg_segment_size: 48
    .language:       OpenCL C
    .language_version:
      - 2
      - 0
    .max_flat_workgroup_size: 256
    .name:           batched_transpose_64x32_pack_4x2_ediv_4x2_half
    .private_segment_fixed_size: 0
    .sgpr_count:     38
    .sgpr_spill_count: 0
    .symbol:         batched_transpose_64x32_pack_4x2_ediv_4x2_half.kd
    .uniform_work_group_size: 1
    .uses_dynamic_stack: false
    .vgpr_count:     19
    .vgpr_spill_count: 0
    .wavefront_size: 32
  - .args:
      - .address_space:  global
        .offset:         0
        .size:           8
        .value_kind:     global_buffer
      - .address_space:  global
        .offset:         8
        .size:           8
        .value_kind:     global_buffer
      - .offset:         16
        .size:           4
        .value_kind:     by_value
      - .offset:         20
        .size:           4
        .value_kind:     by_value
      - .offset:         24
        .size:           4
        .value_kind:     by_value
      - .offset:         28
        .size:           4
        .value_kind:     by_value
      - .offset:         32
        .size:           4
        .value_kind:     by_value
      - .offset:         36
        .size:           4
        .value_kind:     by_value
      - .offset:         40
        .size:           4
        .value_kind:     by_value
      - .offset:         44
        .size:           4
        .value_kind:     by_value
    .group_segment_fixed_size: 4352
    .kernarg_segment_align: 8
    .kernarg_segment_size: 48
    .language:       OpenCL C
    .language_version:
      - 2
      - 0
    .max_flat_workgroup_size: 256
    .name:           batched_transpose_64x32_pack_4x2_ediv_2x2_half
    .private_segment_fixed_size: 0
    .sgpr_count:     38
    .sgpr_spill_count: 0
    .symbol:         batched_transpose_64x32_pack_4x2_ediv_2x2_half.kd
    .uniform_work_group_size: 1
    .uses_dynamic_stack: false
    .vgpr_count:     23
    .vgpr_spill_count: 0
    .wavefront_size: 32
  - .args:
      - .address_space:  global
        .offset:         0
        .size:           8
        .value_kind:     global_buffer
      - .address_space:  global
        .offset:         8
        .size:           8
        .value_kind:     global_buffer
      - .offset:         16
        .size:           4
        .value_kind:     by_value
      - .offset:         20
        .size:           4
        .value_kind:     by_value
      - .offset:         24
        .size:           4
        .value_kind:     by_value
      - .offset:         28
        .size:           4
        .value_kind:     by_value
      - .offset:         32
        .size:           4
        .value_kind:     by_value
      - .offset:         36
        .size:           4
        .value_kind:     by_value
      - .offset:         40
        .size:           4
        .value_kind:     by_value
      - .offset:         44
        .size:           4
        .value_kind:     by_value
    .group_segment_fixed_size: 4352
    .kernarg_segment_align: 8
    .kernarg_segment_size: 48
    .language:       OpenCL C
    .language_version:
      - 2
      - 0
    .max_flat_workgroup_size: 256
    .name:           batched_transpose_64x32_pack_4x2_ediv_2x1_half
    .private_segment_fixed_size: 0
    .sgpr_count:     41
    .sgpr_spill_count: 0
    .symbol:         batched_transpose_64x32_pack_4x2_ediv_2x1_half.kd
    .uniform_work_group_size: 1
    .uses_dynamic_stack: false
    .vgpr_count:     24
    .vgpr_spill_count: 0
    .wavefront_size: 32
  - .args:
      - .address_space:  global
        .offset:         0
        .size:           8
        .value_kind:     global_buffer
      - .address_space:  global
        .offset:         8
        .size:           8
        .value_kind:     global_buffer
      - .offset:         16
        .size:           4
        .value_kind:     by_value
      - .offset:         20
        .size:           4
        .value_kind:     by_value
      - .offset:         24
        .size:           4
        .value_kind:     by_value
      - .offset:         28
        .size:           4
        .value_kind:     by_value
      - .offset:         32
        .size:           4
        .value_kind:     by_value
      - .offset:         36
        .size:           4
        .value_kind:     by_value
      - .offset:         40
        .size:           4
        .value_kind:     by_value
      - .offset:         44
        .size:           4
        .value_kind:     by_value
    .group_segment_fixed_size: 4352
    .kernarg_segment_align: 8
    .kernarg_segment_size: 48
    .language:       OpenCL C
    .language_version:
      - 2
      - 0
    .max_flat_workgroup_size: 256
    .name:           batched_transpose_32x64_pack_2x4_ediv_2x4_half
    .private_segment_fixed_size: 0
    .sgpr_count:     38
    .sgpr_spill_count: 0
    .symbol:         batched_transpose_32x64_pack_2x4_ediv_2x4_half.kd
    .uniform_work_group_size: 1
    .uses_dynamic_stack: false
    .vgpr_count:     19
    .vgpr_spill_count: 0
    .wavefront_size: 32
  - .args:
      - .address_space:  global
        .offset:         0
        .size:           8
        .value_kind:     global_buffer
      - .address_space:  global
        .offset:         8
        .size:           8
        .value_kind:     global_buffer
      - .offset:         16
        .size:           4
        .value_kind:     by_value
      - .offset:         20
        .size:           4
        .value_kind:     by_value
      - .offset:         24
        .size:           4
        .value_kind:     by_value
      - .offset:         28
        .size:           4
        .value_kind:     by_value
      - .offset:         32
        .size:           4
        .value_kind:     by_value
      - .offset:         36
        .size:           4
        .value_kind:     by_value
      - .offset:         40
        .size:           4
        .value_kind:     by_value
      - .offset:         44
        .size:           4
        .value_kind:     by_value
    .group_segment_fixed_size: 4352
    .kernarg_segment_align: 8
    .kernarg_segment_size: 48
    .language:       OpenCL C
    .language_version:
      - 2
      - 0
    .max_flat_workgroup_size: 256
    .name:           batched_transpose_32x64_pack_2x4_ediv_2x2_half
    .private_segment_fixed_size: 0
    .sgpr_count:     38
    .sgpr_spill_count: 0
    .symbol:         batched_transpose_32x64_pack_2x4_ediv_2x2_half.kd
    .uniform_work_group_size: 1
    .uses_dynamic_stack: false
    .vgpr_count:     24
    .vgpr_spill_count: 0
    .wavefront_size: 32
  - .args:
      - .address_space:  global
        .offset:         0
        .size:           8
        .value_kind:     global_buffer
      - .address_space:  global
        .offset:         8
        .size:           8
        .value_kind:     global_buffer
      - .offset:         16
        .size:           4
        .value_kind:     by_value
      - .offset:         20
        .size:           4
        .value_kind:     by_value
      - .offset:         24
        .size:           4
        .value_kind:     by_value
      - .offset:         28
        .size:           4
        .value_kind:     by_value
      - .offset:         32
        .size:           4
        .value_kind:     by_value
      - .offset:         36
        .size:           4
        .value_kind:     by_value
      - .offset:         40
        .size:           4
        .value_kind:     by_value
      - .offset:         44
        .size:           4
        .value_kind:     by_value
    .group_segment_fixed_size: 4352
    .kernarg_segment_align: 8
    .kernarg_segment_size: 48
    .language:       OpenCL C
    .language_version:
      - 2
      - 0
    .max_flat_workgroup_size: 256
    .name:           batched_transpose_32x64_pack_2x4_ediv_1x2_half
    .private_segment_fixed_size: 0
    .sgpr_count:     39
    .sgpr_spill_count: 0
    .symbol:         batched_transpose_32x64_pack_2x4_ediv_1x2_half.kd
    .uniform_work_group_size: 1
    .uses_dynamic_stack: false
    .vgpr_count:     24
    .vgpr_spill_count: 0
    .wavefront_size: 32
  - .args:
      - .address_space:  global
        .offset:         0
        .size:           8
        .value_kind:     global_buffer
      - .address_space:  global
        .offset:         8
        .size:           8
        .value_kind:     global_buffer
      - .offset:         16
        .size:           4
        .value_kind:     by_value
      - .offset:         20
        .size:           4
        .value_kind:     by_value
      - .offset:         24
        .size:           4
        .value_kind:     by_value
      - .offset:         28
        .size:           4
        .value_kind:     by_value
      - .offset:         32
        .size:           4
        .value_kind:     by_value
      - .offset:         36
        .size:           4
        .value_kind:     by_value
      - .offset:         40
        .size:           4
        .value_kind:     by_value
      - .offset:         44
        .size:           4
        .value_kind:     by_value
    .group_segment_fixed_size: 2176
    .kernarg_segment_align: 8
    .kernarg_segment_size: 48
    .language:       OpenCL C
    .language_version:
      - 2
      - 0
    .max_flat_workgroup_size: 256
    .name:           batched_transpose_16x64_pack_1x4_ediv_1x2_half
    .private_segment_fixed_size: 0
    .sgpr_count:     34
    .sgpr_spill_count: 0
    .symbol:         batched_transpose_16x64_pack_1x4_ediv_1x2_half.kd
    .uniform_work_group_size: 1
    .uses_dynamic_stack: false
    .vgpr_count:     19
    .vgpr_spill_count: 0
    .wavefront_size: 32
  - .args:
      - .address_space:  global
        .offset:         0
        .size:           8
        .value_kind:     global_buffer
      - .address_space:  global
        .offset:         8
        .size:           8
        .value_kind:     global_buffer
      - .offset:         16
        .size:           4
        .value_kind:     by_value
      - .offset:         20
        .size:           4
        .value_kind:     by_value
      - .offset:         24
        .size:           4
        .value_kind:     by_value
      - .offset:         28
        .size:           4
        .value_kind:     by_value
      - .offset:         32
        .size:           4
        .value_kind:     by_value
      - .offset:         36
        .size:           4
        .value_kind:     by_value
      - .offset:         40
        .size:           4
        .value_kind:     by_value
      - .offset:         44
        .size:           4
        .value_kind:     by_value
    .group_segment_fixed_size: 2176
    .kernarg_segment_align: 8
    .kernarg_segment_size: 48
    .language:       OpenCL C
    .language_version:
      - 2
      - 0
    .max_flat_workgroup_size: 256
    .name:           batched_transpose_64x16_pack_4x1_ediv_2x1_half
    .private_segment_fixed_size: 0
    .sgpr_count:     38
    .sgpr_spill_count: 0
    .symbol:         batched_transpose_64x16_pack_4x1_ediv_2x1_half.kd
    .uniform_work_group_size: 1
    .uses_dynamic_stack: false
    .vgpr_count:     18
    .vgpr_spill_count: 0
    .wavefront_size: 32
  - .args:
      - .address_space:  global
        .offset:         0
        .size:           8
        .value_kind:     global_buffer
      - .address_space:  global
        .offset:         8
        .size:           8
        .value_kind:     global_buffer
      - .offset:         16
        .size:           4
        .value_kind:     by_value
      - .offset:         20
        .size:           4
        .value_kind:     by_value
      - .offset:         24
        .size:           4
        .value_kind:     by_value
      - .offset:         28
        .size:           4
        .value_kind:     by_value
      - .offset:         32
        .size:           4
        .value_kind:     by_value
      - .offset:         36
        .size:           4
        .value_kind:     by_value
      - .offset:         40
        .size:           4
        .value_kind:     by_value
      - .offset:         44
        .size:           4
        .value_kind:     by_value
    .group_segment_fixed_size: 8704
    .kernarg_segment_align: 8
    .kernarg_segment_size: 48
    .language:       OpenCL C
    .language_version:
      - 2
      - 0
    .max_flat_workgroup_size: 256
    .name:           batched_transpose_64x64_pack_4x4_ediv_4x4_half
    .private_segment_fixed_size: 0
    .sgpr_count:     42
    .sgpr_spill_count: 0
    .symbol:         batched_transpose_64x64_pack_4x4_ediv_4x4_half.kd
    .uniform_work_group_size: 1
    .uses_dynamic_stack: false
    .vgpr_count:     32
    .vgpr_spill_count: 0
    .wavefront_size: 32
  - .args:
      - .address_space:  global
        .offset:         0
        .size:           8
        .value_kind:     global_buffer
      - .address_space:  global
        .offset:         8
        .size:           8
        .value_kind:     global_buffer
      - .offset:         16
        .size:           4
        .value_kind:     by_value
      - .offset:         20
        .size:           4
        .value_kind:     by_value
      - .offset:         24
        .size:           4
        .value_kind:     by_value
      - .offset:         28
        .size:           4
        .value_kind:     by_value
      - .offset:         32
        .size:           4
        .value_kind:     by_value
      - .offset:         36
        .size:           4
        .value_kind:     by_value
      - .offset:         40
        .size:           4
        .value_kind:     by_value
      - .offset:         44
        .size:           4
        .value_kind:     by_value
    .group_segment_fixed_size: 8704
    .kernarg_segment_align: 8
    .kernarg_segment_size: 48
    .language:       OpenCL C
    .language_version:
      - 2
      - 0
    .max_flat_workgroup_size: 256
    .name:           batched_transpose_64x64_pack_4x4_ediv_2x2_half
    .private_segment_fixed_size: 0
    .sgpr_count:     44
    .sgpr_spill_count: 0
    .symbol:         batched_transpose_64x64_pack_4x4_ediv_2x2_half.kd
    .uniform_work_group_size: 1
    .uses_dynamic_stack: false
    .vgpr_count:     32
    .vgpr_spill_count: 0
    .wavefront_size: 32
amdhsa.target:   amdgcn-amd-amdhsa--gfx1250
amdhsa.version:
  - 1
  - 2
...

	.end_amdgpu_metadata
